;; amdgpu-corpus repo=llvm/llvm-project kind=harvested arch=n/a opt=n/a
// NOTE: Assertions have been autogenerated by utils/update_mc_test_checks.py UTC_ARGS: --version 5
// RUN: llvm-mc -triple=amdgcn -mcpu=gfx1250 -show-encoding %s | FileCheck --check-prefixes=GFX1250 %s
// RUN: not llvm-mc -triple=amdgcn -mcpu=gfx1250 -mattr=-wavefrontsize32,+wavefrontsize64 -filetype=null %s 2>&1 | FileCheck --check-prefixes=W64-ERR --implicit-check-not=error: %s

v_dual_add_f32 v255, v4, v2 :: v_dual_add_f32 v7, v1, v3
// GFX1250: v_dual_add_f32 v255, v4, v2 :: v_dual_add_f32 v7, v1, v3 ; encoding: [0x04,0x41,0x10,0xcf,0x01,0x01,0x02,0x00,0xff,0x03,0x00,0x07]
// W64-ERR: :[[@LINE-2]]:1: error: instruction requires wavesize=32

v_dual_add_f32 v255, v1, v2 :: v_dual_add_f32 v7, v255, v3
// GFX1250: v_dual_add_f32 v255, v1, v2 :: v_dual_add_f32 v7, v255, v3 ; encoding: [0x01,0x41,0x10,0xcf,0xff,0x01,0x02,0x00,0xff,0x03,0x00,0x07]
// W64-ERR: :[[@LINE-2]]:1: error: instruction requires wavesize=32
	;; [unrolled: 4-line block ×7, first 2 shown]

v_dual_add_f32 v255, ttmp15, v2 :: v_dual_add_f32 v7, vcc_lo, v3
// GFX1250: v_dual_add_f32 v255, ttmp15, v2 :: v_dual_add_f32 v7, vcc_lo, v3 ; encoding: [0x7b,0x40,0x10,0xcf,0x6a,0x00,0x02,0x00,0xff,0x03,0x00,0x07]
// W64-ERR: :[[@LINE-2]]:1: error: instruction requires wavesize=32

v_dual_add_f32 v255, exec_hi, v2 :: v_dual_add_f32 v7, vcc_hi, v3
// GFX1250: v_dual_add_f32 v255, exec_hi, v2 :: v_dual_add_f32 v7, vcc_hi, v3 ; encoding: [0x7f,0x40,0x10,0xcf,0x6b,0x00,0x02,0x00,0xff,0x03,0x00,0x07]
// W64-ERR: :[[@LINE-2]]:1: error: instruction requires wavesize=32

v_dual_add_f32 v255, exec_lo, v2 :: v_dual_add_f32 v7, ttmp15, v3
// GFX1250: v_dual_add_f32 v255, exec_lo, v2 :: v_dual_add_f32 v7, ttmp15, v3 ; encoding: [0x7e,0x40,0x10,0xcf,0x7b,0x00,0x02,0x00,0xff,0x03,0x00,0x07]
// W64-ERR: :[[@LINE-2]]:1: error: instruction requires wavesize=32

v_dual_add_f32 v255, m0, v2 :: v_dual_add_f32 v7, m0, v3
// GFX1250: v_dual_add_f32 v255, m0, v2 :: v_dual_add_f32 v7, m0, v3 ; encoding: [0x7d,0x40,0x10,0xcf,0x7d,0x00,0x02,0x00,0xff,0x03,0x00,0x07]
// W64-ERR: :[[@LINE-2]]:1: error: instruction requires wavesize=32

v_dual_add_f32 v255, vcc_hi, v2 :: v_dual_add_f32 v7, exec_lo, v3
// GFX1250: v_dual_add_f32 v255, vcc_hi, v2 :: v_dual_add_f32 v7, exec_lo, v3 ; encoding: [0x6b,0x40,0x10,0xcf,0x7e,0x00,0x02,0x00,0xff,0x03,0x00,0x07]
// W64-ERR: :[[@LINE-2]]:1: error: instruction requires wavesize=32

v_dual_add_f32 v255, vcc_lo, v2 :: v_dual_add_f32 v7, exec_hi, v3
// GFX1250: v_dual_add_f32 v255, vcc_lo, v2 :: v_dual_add_f32 v7, exec_hi, v3 ; encoding: [0x6a,0x40,0x10,0xcf,0x7f,0x00,0x02,0x00,0xff,0x03,0x00,0x07]
// W64-ERR: :[[@LINE-2]]:1: error: instruction requires wavesize=32

v_dual_add_f32 v255, src_scc, v2 :: v_dual_add_f32 v7, -1, v3
// GFX1250: v_dual_add_f32 v255, src_scc, v2 :: v_dual_add_f32 v7, -1, v3 ; encoding: [0xfd,0x40,0x10,0xcf,0xc1,0x00,0x02,0x00,0xff,0x03,0x00,0x07]
// W64-ERR: :[[@LINE-2]]:1: error: instruction requires wavesize=32

v_dual_add_f32 v255, 0.5, v3 :: v_dual_add_f32 v7, 0.5, v2
// GFX1250: v_dual_add_f32 v255, 0.5, v3 :: v_dual_add_f32 v7, 0.5, v2 ; encoding: [0xf0,0x40,0x10,0xcf,0xf0,0x00,0x03,0x00,0xff,0x02,0x00,0x07]
// W64-ERR: :[[@LINE-2]]:1: error: instruction requires wavesize=32

v_dual_add_f32 v255, -1, v4 :: v_dual_add_f32 v7, src_scc, v5
// GFX1250: v_dual_add_f32 v255, -1, v4 :: v_dual_add_f32 v7, src_scc, v5 ; encoding: [0xc1,0x40,0x10,0xcf,0xfd,0x00,0x04,0x00,0xff,0x05,0x00,0x07]
// W64-ERR: :[[@LINE-2]]:1: error: instruction requires wavesize=32

v_dual_add_f32 v255, v4, v2 :: v_dual_add_nc_u32 v7, v1, v3
// GFX1250: v_dual_add_f32 v255, v4, v2 :: v_dual_add_nc_u32 v7, v1, v3 ; encoding: [0x04,0x01,0x11,0xcf,0x01,0x01,0x02,0x00,0xff,0x03,0x00,0x07]
// W64-ERR: :[[@LINE-2]]:1: error: instruction requires wavesize=32

v_dual_add_f32 v255, v1, v2 :: v_dual_add_nc_u32 v7, v255, v3
// GFX1250: v_dual_add_f32 v255, v1, v2 :: v_dual_add_nc_u32 v7, v255, v3 ; encoding: [0x01,0x01,0x11,0xcf,0xff,0x01,0x02,0x00,0xff,0x03,0x00,0x07]
	;; [unrolled: 4-line block ×7, first 2 shown]
// W64-ERR: :[[@LINE-2]]:1: error: instruction requires wavesize=32

v_dual_add_f32 v255, ttmp15, v2 :: v_dual_add_nc_u32 v7, vcc_lo, v3
// GFX1250: v_dual_add_f32 v255, ttmp15, v2 :: v_dual_add_nc_u32 v7, vcc_lo, v3 ; encoding: [0x7b,0x00,0x11,0xcf,0x6a,0x00,0x02,0x00,0xff,0x03,0x00,0x07]
// W64-ERR: :[[@LINE-2]]:1: error: instruction requires wavesize=32

v_dual_add_f32 v255, exec_hi, v2 :: v_dual_add_nc_u32 v7, vcc_hi, v3
// GFX1250: v_dual_add_f32 v255, exec_hi, v2 :: v_dual_add_nc_u32 v7, vcc_hi, v3 ; encoding: [0x7f,0x00,0x11,0xcf,0x6b,0x00,0x02,0x00,0xff,0x03,0x00,0x07]
// W64-ERR: :[[@LINE-2]]:1: error: instruction requires wavesize=32

v_dual_add_f32 v255, exec_lo, v2 :: v_dual_add_nc_u32 v7, ttmp15, v3
// GFX1250: v_dual_add_f32 v255, exec_lo, v2 :: v_dual_add_nc_u32 v7, ttmp15, v3 ; encoding: [0x7e,0x00,0x11,0xcf,0x7b,0x00,0x02,0x00,0xff,0x03,0x00,0x07]
// W64-ERR: :[[@LINE-2]]:1: error: instruction requires wavesize=32

v_dual_add_f32 v255, m0, v2 :: v_dual_add_nc_u32 v7, m0, v3
// GFX1250: v_dual_add_f32 v255, m0, v2 :: v_dual_add_nc_u32 v7, m0, v3 ; encoding: [0x7d,0x00,0x11,0xcf,0x7d,0x00,0x02,0x00,0xff,0x03,0x00,0x07]
// W64-ERR: :[[@LINE-2]]:1: error: instruction requires wavesize=32

v_dual_add_f32 v255, vcc_hi, v2 :: v_dual_add_nc_u32 v7, exec_lo, v3
// GFX1250: v_dual_add_f32 v255, vcc_hi, v2 :: v_dual_add_nc_u32 v7, exec_lo, v3 ; encoding: [0x6b,0x00,0x11,0xcf,0x7e,0x00,0x02,0x00,0xff,0x03,0x00,0x07]
// W64-ERR: :[[@LINE-2]]:1: error: instruction requires wavesize=32

v_dual_add_f32 v255, vcc_lo, v2 :: v_dual_add_nc_u32 v7, exec_hi, v3
// GFX1250: v_dual_add_f32 v255, vcc_lo, v2 :: v_dual_add_nc_u32 v7, exec_hi, v3 ; encoding: [0x6a,0x00,0x11,0xcf,0x7f,0x00,0x02,0x00,0xff,0x03,0x00,0x07]
// W64-ERR: :[[@LINE-2]]:1: error: instruction requires wavesize=32

v_dual_add_f32 v255, src_scc, v2 :: v_dual_add_nc_u32 v7, -1, v3
// GFX1250: v_dual_add_f32 v255, src_scc, v2 :: v_dual_add_nc_u32 v7, -1, v3 ; encoding: [0xfd,0x00,0x11,0xcf,0xc1,0x00,0x02,0x00,0xff,0x03,0x00,0x07]
// W64-ERR: :[[@LINE-2]]:1: error: instruction requires wavesize=32

v_dual_add_f32 v255, 0.5, v3 :: v_dual_add_nc_u32 v7, 0.5, v2
// GFX1250: v_dual_add_f32 v255, 0.5, v3 :: v_dual_add_nc_u32 v7, 0.5, v2 ; encoding: [0xf0,0x00,0x11,0xcf,0xf0,0x00,0x03,0x00,0xff,0x02,0x00,0x07]
// W64-ERR: :[[@LINE-2]]:1: error: instruction requires wavesize=32

v_dual_add_f32 v255, -1, v4 :: v_dual_add_nc_u32 v7, src_scc, v5
// GFX1250: v_dual_add_f32 v255, -1, v4 :: v_dual_add_nc_u32 v7, src_scc, v5 ; encoding: [0xc1,0x00,0x11,0xcf,0xfd,0x00,0x04,0x00,0xff,0x05,0x00,0x07]
// W64-ERR: :[[@LINE-2]]:1: error: instruction requires wavesize=32

v_dual_add_f32 v255, v4, v2 :: v_dual_cndmask_b32 v7, v1, v3, vcc_lo
// GFX1250: v_dual_add_f32 v255, v4, v2 :: v_dual_cndmask_b32 v7, v1, v3, vcc_lo ; encoding: [0x04,0x91,0x10,0xcf,0x01,0x01,0x02,0x00,0xff,0x03,0x6a,0x07]
// W64-ERR: :[[@LINE-2]]:1: error: instruction requires wavesize=32

v_dual_add_f32 v255, v1, v2 :: v_dual_cndmask_b32 v7, v255, v3, vcc_lo
// GFX1250: v_dual_add_f32 v255, v1, v2 :: v_dual_cndmask_b32 v7, v255, v3, vcc_lo ; encoding: [0x01,0x91,0x10,0xcf,0xff,0x01,0x02,0x00,0xff,0x03,0x6a,0x07]
	;; [unrolled: 4-line block ×7, first 2 shown]
// W64-ERR: :[[@LINE-2]]:1: error: instruction requires wavesize=32

v_dual_add_f32 v255, ttmp15, v2 :: v_dual_cndmask_b32 v7, ttmp15, v3, vcc_lo
// GFX1250: v_dual_add_f32 v255, ttmp15, v2 :: v_dual_cndmask_b32 v7, ttmp15, v3, vcc_lo ; encoding: [0x7b,0x90,0x10,0xcf,0x7b,0x00,0x02,0x00,0xff,0x03,0x6a,0x07]
// W64-ERR: :[[@LINE-2]]:1: error: instruction requires wavesize=32

v_dual_add_f32 v255, exec_hi, v2 :: v_dual_cndmask_b32 v7, exec_hi, v3, vcc_lo
// GFX1250: v_dual_add_f32 v255, exec_hi, v2 :: v_dual_cndmask_b32 v7, exec_hi, v3, vcc_lo ; encoding: [0x7f,0x90,0x10,0xcf,0x7f,0x00,0x02,0x00,0xff,0x03,0x6a,0x07]
// W64-ERR: :[[@LINE-2]]:1: error: instruction requires wavesize=32

v_dual_add_f32 v255, exec_lo, v2 :: v_dual_cndmask_b32 v7, exec_lo, v3, vcc_lo
// GFX1250: v_dual_add_f32 v255, exec_lo, v2 :: v_dual_cndmask_b32 v7, exec_lo, v3, vcc_lo ; encoding: [0x7e,0x90,0x10,0xcf,0x7e,0x00,0x02,0x00,0xff,0x03,0x6a,0x07]
// W64-ERR: :[[@LINE-2]]:1: error: instruction requires wavesize=32

v_dual_add_f32 v255, m0, v2 :: v_dual_cndmask_b32 v7, m0, v3, vcc_lo
// GFX1250: v_dual_add_f32 v255, m0, v2 :: v_dual_cndmask_b32 v7, m0, v3, vcc_lo ; encoding: [0x7d,0x90,0x10,0xcf,0x7d,0x00,0x02,0x00,0xff,0x03,0x6a,0x07]
// W64-ERR: :[[@LINE-2]]:1: error: instruction requires wavesize=32

v_dual_add_f32 v255, vcc_hi, v2 :: v_dual_cndmask_b32 v7, vcc_hi, v3, vcc_lo
// GFX1250: v_dual_add_f32 v255, vcc_hi, v2 :: v_dual_cndmask_b32 v7, vcc_hi, v3, vcc_lo ; encoding: [0x6b,0x90,0x10,0xcf,0x6b,0x00,0x02,0x00,0xff,0x03,0x6a,0x07]
// W64-ERR: :[[@LINE-2]]:1: error: instruction requires wavesize=32

v_dual_add_f32 v255, vcc_lo, v2 :: v_dual_cndmask_b32 v7, vcc_lo, v3, vcc_lo
// GFX1250: v_dual_add_f32 v255, vcc_lo, v2 :: v_dual_cndmask_b32 v7, vcc_lo, v3, vcc_lo ; encoding: [0x6a,0x90,0x10,0xcf,0x6a,0x00,0x02,0x00,0xff,0x03,0x6a,0x07]
// W64-ERR: :[[@LINE-2]]:1: error: instruction requires wavesize=32

v_dual_add_f32 v255, src_scc, v2 :: v_dual_cndmask_b32 v7, -1, v3, vcc_lo
// GFX1250: v_dual_add_f32 v255, src_scc, v2 :: v_dual_cndmask_b32 v7, -1, v3, vcc_lo ; encoding: [0xfd,0x90,0x10,0xcf,0xc1,0x00,0x02,0x00,0xff,0x03,0x6a,0x07]
// W64-ERR: :[[@LINE-2]]:1: error: instruction requires wavesize=32

v_dual_add_f32 v255, 0.5, v3 :: v_dual_cndmask_b32 v7, 0.5, v2, vcc_lo
// GFX1250: v_dual_add_f32 v255, 0.5, v3 :: v_dual_cndmask_b32 v7, 0.5, v2, vcc_lo ; encoding: [0xf0,0x90,0x10,0xcf,0xf0,0x00,0x03,0x00,0xff,0x02,0x6a,0x07]
// W64-ERR: :[[@LINE-2]]:1: error: instruction requires wavesize=32

v_dual_add_f32 v255, -1, v4 :: v_dual_cndmask_b32 v7, src_scc, v5, vcc_lo
// GFX1250: v_dual_add_f32 v255, -1, v4 :: v_dual_cndmask_b32 v7, src_scc, v5, vcc_lo ; encoding: [0xc1,0x90,0x10,0xcf,0xfd,0x00,0x04,0x00,0xff,0x05,0x6a,0x07]
// W64-ERR: :[[@LINE-2]]:1: error: instruction requires wavesize=32

v_dual_add_f32 v255, v4, v2 :: v_dual_fmac_f32 v7, v1, v3
// GFX1250: v_dual_add_f32 v255, v4, v2 :: v_dual_fmac_f32 v7, v1, v3 ; encoding: [0x04,0x01,0x10,0xcf,0x01,0x01,0x02,0x00,0xff,0x03,0x00,0x07]
// W64-ERR: :[[@LINE-2]]:1: error: instruction requires wavesize=32

v_dual_add_f32 v255, v1, v2 :: v_dual_fmac_f32 v7, v255, v3
// GFX1250: v_dual_add_f32 v255, v1, v2 :: v_dual_fmac_f32 v7, v255, v3 ; encoding: [0x01,0x01,0x10,0xcf,0xff,0x01,0x02,0x00,0xff,0x03,0x00,0x07]
	;; [unrolled: 4-line block ×7, first 2 shown]
// W64-ERR: :[[@LINE-2]]:1: error: instruction requires wavesize=32

v_dual_add_f32 v255, ttmp15, v2 :: v_dual_fmac_f32 v7, vcc_lo, v3
// GFX1250: v_dual_add_f32 v255, ttmp15, v2 :: v_dual_fmac_f32 v7, vcc_lo, v3 ; encoding: [0x7b,0x00,0x10,0xcf,0x6a,0x00,0x02,0x00,0xff,0x03,0x00,0x07]
// W64-ERR: :[[@LINE-2]]:1: error: instruction requires wavesize=32

v_dual_add_f32 v255, exec_hi, v2 :: v_dual_fmac_f32 v7, vcc_hi, v3
// GFX1250: v_dual_add_f32 v255, exec_hi, v2 :: v_dual_fmac_f32 v7, vcc_hi, v3 ; encoding: [0x7f,0x00,0x10,0xcf,0x6b,0x00,0x02,0x00,0xff,0x03,0x00,0x07]
// W64-ERR: :[[@LINE-2]]:1: error: instruction requires wavesize=32

v_dual_add_f32 v255, exec_lo, v2 :: v_dual_fmac_f32 v7, ttmp15, v3
// GFX1250: v_dual_add_f32 v255, exec_lo, v2 :: v_dual_fmac_f32 v7, ttmp15, v3 ; encoding: [0x7e,0x00,0x10,0xcf,0x7b,0x00,0x02,0x00,0xff,0x03,0x00,0x07]
// W64-ERR: :[[@LINE-2]]:1: error: instruction requires wavesize=32

v_dual_add_f32 v255, m0, v2 :: v_dual_fmac_f32 v7, m0, v3
// GFX1250: v_dual_add_f32 v255, m0, v2 :: v_dual_fmac_f32 v7, m0, v3 ; encoding: [0x7d,0x00,0x10,0xcf,0x7d,0x00,0x02,0x00,0xff,0x03,0x00,0x07]
// W64-ERR: :[[@LINE-2]]:1: error: instruction requires wavesize=32

v_dual_add_f32 v255, vcc_hi, v2 :: v_dual_fmac_f32 v7, exec_lo, v3
// GFX1250: v_dual_add_f32 v255, vcc_hi, v2 :: v_dual_fmac_f32 v7, exec_lo, v3 ; encoding: [0x6b,0x00,0x10,0xcf,0x7e,0x00,0x02,0x00,0xff,0x03,0x00,0x07]
// W64-ERR: :[[@LINE-2]]:1: error: instruction requires wavesize=32

v_dual_add_f32 v255, vcc_lo, v2 :: v_dual_fmac_f32 v7, exec_hi, v3
// GFX1250: v_dual_add_f32 v255, vcc_lo, v2 :: v_dual_fmac_f32 v7, exec_hi, v3 ; encoding: [0x6a,0x00,0x10,0xcf,0x7f,0x00,0x02,0x00,0xff,0x03,0x00,0x07]
// W64-ERR: :[[@LINE-2]]:1: error: instruction requires wavesize=32

v_dual_add_f32 v255, src_scc, v2 :: v_dual_fmac_f32 v7, -1, v3
// GFX1250: v_dual_add_f32 v255, src_scc, v2 :: v_dual_fmac_f32 v7, -1, v3 ; encoding: [0xfd,0x00,0x10,0xcf,0xc1,0x00,0x02,0x00,0xff,0x03,0x00,0x07]
// W64-ERR: :[[@LINE-2]]:1: error: instruction requires wavesize=32

v_dual_add_f32 v255, 0.5, v3 :: v_dual_fmac_f32 v7, 0.5, v2
// GFX1250: v_dual_add_f32 v255, 0.5, v3 :: v_dual_fmac_f32 v7, 0.5, v2 ; encoding: [0xf0,0x00,0x10,0xcf,0xf0,0x00,0x03,0x00,0xff,0x02,0x00,0x07]
// W64-ERR: :[[@LINE-2]]:1: error: instruction requires wavesize=32

v_dual_add_f32 v255, -1, v4 :: v_dual_fmac_f32 v7, src_scc, v5
// GFX1250: v_dual_add_f32 v255, -1, v4 :: v_dual_fmac_f32 v7, src_scc, v5 ; encoding: [0xc1,0x00,0x10,0xcf,0xfd,0x00,0x04,0x00,0xff,0x05,0x00,0x07]
// W64-ERR: :[[@LINE-2]]:1: error: instruction requires wavesize=32

v_dual_add_f32 v255, v4, v2 :: v_dual_lshlrev_b32 v7, v1, v3
// GFX1250: v_dual_add_f32 v255, v4, v2 :: v_dual_lshlrev_b32 v7, v1, v3 ; encoding: [0x04,0x11,0x11,0xcf,0x01,0x01,0x02,0x00,0xff,0x03,0x00,0x07]
// W64-ERR: :[[@LINE-2]]:1: error: instruction requires wavesize=32

v_dual_add_f32 v255, v1, v2 :: v_dual_lshlrev_b32 v7, v255, v3
// GFX1250: v_dual_add_f32 v255, v1, v2 :: v_dual_lshlrev_b32 v7, v255, v3 ; encoding: [0x01,0x11,0x11,0xcf,0xff,0x01,0x02,0x00,0xff,0x03,0x00,0x07]
	;; [unrolled: 4-line block ×7, first 2 shown]
// W64-ERR: :[[@LINE-2]]:1: error: instruction requires wavesize=32

v_dual_add_f32 v255, ttmp15, v2 :: v_dual_lshlrev_b32 v7, vcc_lo, v3
// GFX1250: v_dual_add_f32 v255, ttmp15, v2 :: v_dual_lshlrev_b32 v7, vcc_lo, v3 ; encoding: [0x7b,0x10,0x11,0xcf,0x6a,0x00,0x02,0x00,0xff,0x03,0x00,0x07]
// W64-ERR: :[[@LINE-2]]:1: error: instruction requires wavesize=32

v_dual_add_f32 v255, exec_hi, v2 :: v_dual_lshlrev_b32 v7, vcc_hi, v3
// GFX1250: v_dual_add_f32 v255, exec_hi, v2 :: v_dual_lshlrev_b32 v7, vcc_hi, v3 ; encoding: [0x7f,0x10,0x11,0xcf,0x6b,0x00,0x02,0x00,0xff,0x03,0x00,0x07]
// W64-ERR: :[[@LINE-2]]:1: error: instruction requires wavesize=32

v_dual_add_f32 v255, exec_lo, v2 :: v_dual_lshlrev_b32 v7, ttmp15, v3
// GFX1250: v_dual_add_f32 v255, exec_lo, v2 :: v_dual_lshlrev_b32 v7, ttmp15, v3 ; encoding: [0x7e,0x10,0x11,0xcf,0x7b,0x00,0x02,0x00,0xff,0x03,0x00,0x07]
// W64-ERR: :[[@LINE-2]]:1: error: instruction requires wavesize=32

v_dual_add_f32 v255, m0, v2 :: v_dual_lshlrev_b32 v7, m0, v3
// GFX1250: v_dual_add_f32 v255, m0, v2 :: v_dual_lshlrev_b32 v7, m0, v3 ; encoding: [0x7d,0x10,0x11,0xcf,0x7d,0x00,0x02,0x00,0xff,0x03,0x00,0x07]
// W64-ERR: :[[@LINE-2]]:1: error: instruction requires wavesize=32

v_dual_add_f32 v255, vcc_hi, v2 :: v_dual_lshlrev_b32 v7, exec_lo, v3
// GFX1250: v_dual_add_f32 v255, vcc_hi, v2 :: v_dual_lshlrev_b32 v7, exec_lo, v3 ; encoding: [0x6b,0x10,0x11,0xcf,0x7e,0x00,0x02,0x00,0xff,0x03,0x00,0x07]
// W64-ERR: :[[@LINE-2]]:1: error: instruction requires wavesize=32

v_dual_add_f32 v255, vcc_lo, v2 :: v_dual_lshlrev_b32 v7, exec_hi, v3
// GFX1250: v_dual_add_f32 v255, vcc_lo, v2 :: v_dual_lshlrev_b32 v7, exec_hi, v3 ; encoding: [0x6a,0x10,0x11,0xcf,0x7f,0x00,0x02,0x00,0xff,0x03,0x00,0x07]
// W64-ERR: :[[@LINE-2]]:1: error: instruction requires wavesize=32

v_dual_add_f32 v255, src_scc, v2 :: v_dual_lshlrev_b32 v7, -1, v3
// GFX1250: v_dual_add_f32 v255, src_scc, v2 :: v_dual_lshlrev_b32 v7, -1, v3 ; encoding: [0xfd,0x10,0x11,0xcf,0xc1,0x00,0x02,0x00,0xff,0x03,0x00,0x07]
// W64-ERR: :[[@LINE-2]]:1: error: instruction requires wavesize=32

v_dual_add_f32 v255, 0.5, v3 :: v_dual_lshlrev_b32 v7, 0.5, v2
// GFX1250: v_dual_add_f32 v255, 0.5, v3 :: v_dual_lshlrev_b32 v7, 0.5, v2 ; encoding: [0xf0,0x10,0x11,0xcf,0xf0,0x00,0x03,0x00,0xff,0x02,0x00,0x07]
// W64-ERR: :[[@LINE-2]]:1: error: instruction requires wavesize=32

v_dual_add_f32 v255, -1, v4 :: v_dual_lshlrev_b32 v7, src_scc, v5
// GFX1250: v_dual_add_f32 v255, -1, v4 :: v_dual_lshlrev_b32 v7, src_scc, v5 ; encoding: [0xc1,0x10,0x11,0xcf,0xfd,0x00,0x04,0x00,0xff,0x05,0x00,0x07]
// W64-ERR: :[[@LINE-2]]:1: error: instruction requires wavesize=32

v_dual_add_f32 v255, v4, v2 :: v_dual_max_num_f32 v7, v1, v3
// GFX1250: v_dual_add_f32 v255, v4, v2 :: v_dual_max_num_f32 v7, v1, v3 ; encoding: [0x04,0xa1,0x10,0xcf,0x01,0x01,0x02,0x00,0xff,0x03,0x00,0x07]
// W64-ERR: :[[@LINE-2]]:1: error: instruction requires wavesize=32

v_dual_add_f32 v255, v1, v2 :: v_dual_max_num_f32 v7, v255, v3
// GFX1250: v_dual_add_f32 v255, v1, v2 :: v_dual_max_num_f32 v7, v255, v3 ; encoding: [0x01,0xa1,0x10,0xcf,0xff,0x01,0x02,0x00,0xff,0x03,0x00,0x07]
	;; [unrolled: 4-line block ×7, first 2 shown]
// W64-ERR: :[[@LINE-2]]:1: error: instruction requires wavesize=32

v_dual_add_f32 v255, ttmp15, v2 :: v_dual_max_num_f32 v7, vcc_lo, v3
// GFX1250: v_dual_add_f32 v255, ttmp15, v2 :: v_dual_max_num_f32 v7, vcc_lo, v3 ; encoding: [0x7b,0xa0,0x10,0xcf,0x6a,0x00,0x02,0x00,0xff,0x03,0x00,0x07]
// W64-ERR: :[[@LINE-2]]:1: error: instruction requires wavesize=32

v_dual_add_f32 v255, exec_hi, v2 :: v_dual_max_num_f32 v7, vcc_hi, v3
// GFX1250: v_dual_add_f32 v255, exec_hi, v2 :: v_dual_max_num_f32 v7, vcc_hi, v3 ; encoding: [0x7f,0xa0,0x10,0xcf,0x6b,0x00,0x02,0x00,0xff,0x03,0x00,0x07]
// W64-ERR: :[[@LINE-2]]:1: error: instruction requires wavesize=32

v_dual_add_f32 v255, exec_lo, v2 :: v_dual_max_num_f32 v7, ttmp15, v3
// GFX1250: v_dual_add_f32 v255, exec_lo, v2 :: v_dual_max_num_f32 v7, ttmp15, v3 ; encoding: [0x7e,0xa0,0x10,0xcf,0x7b,0x00,0x02,0x00,0xff,0x03,0x00,0x07]
// W64-ERR: :[[@LINE-2]]:1: error: instruction requires wavesize=32

v_dual_add_f32 v255, m0, v2 :: v_dual_max_num_f32 v7, m0, v3
// GFX1250: v_dual_add_f32 v255, m0, v2 :: v_dual_max_num_f32 v7, m0, v3 ; encoding: [0x7d,0xa0,0x10,0xcf,0x7d,0x00,0x02,0x00,0xff,0x03,0x00,0x07]
// W64-ERR: :[[@LINE-2]]:1: error: instruction requires wavesize=32

v_dual_add_f32 v255, vcc_hi, v2 :: v_dual_max_num_f32 v7, exec_lo, v3
// GFX1250: v_dual_add_f32 v255, vcc_hi, v2 :: v_dual_max_num_f32 v7, exec_lo, v3 ; encoding: [0x6b,0xa0,0x10,0xcf,0x7e,0x00,0x02,0x00,0xff,0x03,0x00,0x07]
// W64-ERR: :[[@LINE-2]]:1: error: instruction requires wavesize=32

v_dual_add_f32 v255, vcc_lo, v2 :: v_dual_max_num_f32 v7, exec_hi, v3
// GFX1250: v_dual_add_f32 v255, vcc_lo, v2 :: v_dual_max_num_f32 v7, exec_hi, v3 ; encoding: [0x6a,0xa0,0x10,0xcf,0x7f,0x00,0x02,0x00,0xff,0x03,0x00,0x07]
// W64-ERR: :[[@LINE-2]]:1: error: instruction requires wavesize=32

v_dual_add_f32 v255, src_scc, v2 :: v_dual_max_num_f32 v7, -1, v3
// GFX1250: v_dual_add_f32 v255, src_scc, v2 :: v_dual_max_num_f32 v7, -1, v3 ; encoding: [0xfd,0xa0,0x10,0xcf,0xc1,0x00,0x02,0x00,0xff,0x03,0x00,0x07]
// W64-ERR: :[[@LINE-2]]:1: error: instruction requires wavesize=32

v_dual_add_f32 v255, 0.5, v3 :: v_dual_max_num_f32 v7, 0.5, v2
// GFX1250: v_dual_add_f32 v255, 0.5, v3 :: v_dual_max_num_f32 v7, 0.5, v2 ; encoding: [0xf0,0xa0,0x10,0xcf,0xf0,0x00,0x03,0x00,0xff,0x02,0x00,0x07]
// W64-ERR: :[[@LINE-2]]:1: error: instruction requires wavesize=32

v_dual_add_f32 v255, -1, v4 :: v_dual_max_num_f32 v7, src_scc, v5
// GFX1250: v_dual_add_f32 v255, -1, v4 :: v_dual_max_num_f32 v7, src_scc, v5 ; encoding: [0xc1,0xa0,0x10,0xcf,0xfd,0x00,0x04,0x00,0xff,0x05,0x00,0x07]
// W64-ERR: :[[@LINE-2]]:1: error: instruction requires wavesize=32

v_dual_add_f32 v255, v4, v2 :: v_dual_min_num_f32 v7, v1, v3
// GFX1250: v_dual_add_f32 v255, v4, v2 :: v_dual_min_num_f32 v7, v1, v3 ; encoding: [0x04,0xb1,0x10,0xcf,0x01,0x01,0x02,0x00,0xff,0x03,0x00,0x07]
// W64-ERR: :[[@LINE-2]]:1: error: instruction requires wavesize=32

v_dual_add_f32 v255, v1, v2 :: v_dual_min_num_f32 v7, v255, v3
// GFX1250: v_dual_add_f32 v255, v1, v2 :: v_dual_min_num_f32 v7, v255, v3 ; encoding: [0x01,0xb1,0x10,0xcf,0xff,0x01,0x02,0x00,0xff,0x03,0x00,0x07]
	;; [unrolled: 4-line block ×7, first 2 shown]
// W64-ERR: :[[@LINE-2]]:1: error: instruction requires wavesize=32

v_dual_add_f32 v255, ttmp15, v2 :: v_dual_min_num_f32 v7, vcc_lo, v3
// GFX1250: v_dual_add_f32 v255, ttmp15, v2 :: v_dual_min_num_f32 v7, vcc_lo, v3 ; encoding: [0x7b,0xb0,0x10,0xcf,0x6a,0x00,0x02,0x00,0xff,0x03,0x00,0x07]
// W64-ERR: :[[@LINE-2]]:1: error: instruction requires wavesize=32

v_dual_add_f32 v255, exec_hi, v2 :: v_dual_min_num_f32 v7, vcc_hi, v3
// GFX1250: v_dual_add_f32 v255, exec_hi, v2 :: v_dual_min_num_f32 v7, vcc_hi, v3 ; encoding: [0x7f,0xb0,0x10,0xcf,0x6b,0x00,0x02,0x00,0xff,0x03,0x00,0x07]
// W64-ERR: :[[@LINE-2]]:1: error: instruction requires wavesize=32

v_dual_add_f32 v255, exec_lo, v2 :: v_dual_min_num_f32 v7, ttmp15, v3
// GFX1250: v_dual_add_f32 v255, exec_lo, v2 :: v_dual_min_num_f32 v7, ttmp15, v3 ; encoding: [0x7e,0xb0,0x10,0xcf,0x7b,0x00,0x02,0x00,0xff,0x03,0x00,0x07]
// W64-ERR: :[[@LINE-2]]:1: error: instruction requires wavesize=32

v_dual_add_f32 v255, m0, v2 :: v_dual_min_num_f32 v7, m0, v3
// GFX1250: v_dual_add_f32 v255, m0, v2 :: v_dual_min_num_f32 v7, m0, v3 ; encoding: [0x7d,0xb0,0x10,0xcf,0x7d,0x00,0x02,0x00,0xff,0x03,0x00,0x07]
// W64-ERR: :[[@LINE-2]]:1: error: instruction requires wavesize=32

v_dual_add_f32 v255, vcc_hi, v2 :: v_dual_min_num_f32 v7, exec_lo, v3
// GFX1250: v_dual_add_f32 v255, vcc_hi, v2 :: v_dual_min_num_f32 v7, exec_lo, v3 ; encoding: [0x6b,0xb0,0x10,0xcf,0x7e,0x00,0x02,0x00,0xff,0x03,0x00,0x07]
// W64-ERR: :[[@LINE-2]]:1: error: instruction requires wavesize=32

v_dual_add_f32 v255, vcc_lo, v2 :: v_dual_min_num_f32 v7, exec_hi, v3
// GFX1250: v_dual_add_f32 v255, vcc_lo, v2 :: v_dual_min_num_f32 v7, exec_hi, v3 ; encoding: [0x6a,0xb0,0x10,0xcf,0x7f,0x00,0x02,0x00,0xff,0x03,0x00,0x07]
// W64-ERR: :[[@LINE-2]]:1: error: instruction requires wavesize=32

v_dual_add_f32 v255, src_scc, v2 :: v_dual_min_num_f32 v7, -1, v3
// GFX1250: v_dual_add_f32 v255, src_scc, v2 :: v_dual_min_num_f32 v7, -1, v3 ; encoding: [0xfd,0xb0,0x10,0xcf,0xc1,0x00,0x02,0x00,0xff,0x03,0x00,0x07]
// W64-ERR: :[[@LINE-2]]:1: error: instruction requires wavesize=32

v_dual_add_f32 v255, 0.5, v3 :: v_dual_min_num_f32 v7, 0.5, v2
// GFX1250: v_dual_add_f32 v255, 0.5, v3 :: v_dual_min_num_f32 v7, 0.5, v2 ; encoding: [0xf0,0xb0,0x10,0xcf,0xf0,0x00,0x03,0x00,0xff,0x02,0x00,0x07]
// W64-ERR: :[[@LINE-2]]:1: error: instruction requires wavesize=32

v_dual_add_f32 v255, -1, v4 :: v_dual_min_num_f32 v7, src_scc, v5
// GFX1250: v_dual_add_f32 v255, -1, v4 :: v_dual_min_num_f32 v7, src_scc, v5 ; encoding: [0xc1,0xb0,0x10,0xcf,0xfd,0x00,0x04,0x00,0xff,0x05,0x00,0x07]
// W64-ERR: :[[@LINE-2]]:1: error: instruction requires wavesize=32

v_dual_add_f32 v255, v4, v255 :: v_dual_mov_b32 v7, v1
// GFX1250: v_dual_add_f32 v255, v4, v255 :: v_dual_mov_b32 v7, v1 ; encoding: [0x04,0x81,0x10,0xcf,0x01,0x01,0xff,0x00,0xff,0x00,0x00,0x07]
// W64-ERR: :[[@LINE-2]]:1: error: instruction requires wavesize=32

v_dual_add_f32 v255, v1, v255 :: v_dual_mov_b32 v7, v255
// GFX1250: v_dual_add_f32 v255, v1, v255 :: v_dual_mov_b32 v7, v255 ; encoding: [0x01,0x81,0x10,0xcf,0xff,0x01,0xff,0x00,0xff,0x00,0x00,0x07]
	;; [unrolled: 4-line block ×7, first 2 shown]
// W64-ERR: :[[@LINE-2]]:1: error: instruction requires wavesize=32

v_dual_add_f32 v255, ttmp15, v255 :: v_dual_mov_b32 v7, vcc_lo
// GFX1250: v_dual_add_f32 v255, ttmp15, v255 :: v_dual_mov_b32 v7, vcc_lo ; encoding: [0x7b,0x80,0x10,0xcf,0x6a,0x00,0xff,0x00,0xff,0x00,0x00,0x07]
// W64-ERR: :[[@LINE-2]]:1: error: instruction requires wavesize=32

v_dual_add_f32 v255, exec_hi, v255 :: v_dual_mov_b32 v7, vcc_hi
// GFX1250: v_dual_add_f32 v255, exec_hi, v255 :: v_dual_mov_b32 v7, vcc_hi ; encoding: [0x7f,0x80,0x10,0xcf,0x6b,0x00,0xff,0x00,0xff,0x00,0x00,0x07]
// W64-ERR: :[[@LINE-2]]:1: error: instruction requires wavesize=32

v_dual_add_f32 v255, exec_lo, v255 :: v_dual_mov_b32 v7, ttmp15
// GFX1250: v_dual_add_f32 v255, exec_lo, v255 :: v_dual_mov_b32 v7, ttmp15 ; encoding: [0x7e,0x80,0x10,0xcf,0x7b,0x00,0xff,0x00,0xff,0x00,0x00,0x07]
// W64-ERR: :[[@LINE-2]]:1: error: instruction requires wavesize=32

v_dual_add_f32 v255, m0, v255 :: v_dual_mov_b32 v7, m0
// GFX1250: v_dual_add_f32 v255, m0, v255 :: v_dual_mov_b32 v7, m0 ; encoding: [0x7d,0x80,0x10,0xcf,0x7d,0x00,0xff,0x00,0xff,0x00,0x00,0x07]
// W64-ERR: :[[@LINE-2]]:1: error: instruction requires wavesize=32

v_dual_add_f32 v255, vcc_hi, v255 :: v_dual_mov_b32 v7, exec_lo
// GFX1250: v_dual_add_f32 v255, vcc_hi, v255 :: v_dual_mov_b32 v7, exec_lo ; encoding: [0x6b,0x80,0x10,0xcf,0x7e,0x00,0xff,0x00,0xff,0x00,0x00,0x07]
// W64-ERR: :[[@LINE-2]]:1: error: instruction requires wavesize=32

v_dual_add_f32 v255, vcc_lo, v255 :: v_dual_mov_b32 v7, exec_hi
// GFX1250: v_dual_add_f32 v255, vcc_lo, v255 :: v_dual_mov_b32 v7, exec_hi ; encoding: [0x6a,0x80,0x10,0xcf,0x7f,0x00,0xff,0x00,0xff,0x00,0x00,0x07]
// W64-ERR: :[[@LINE-2]]:1: error: instruction requires wavesize=32

v_dual_add_f32 v255, src_scc, v255 :: v_dual_mov_b32 v7, -1
// GFX1250: v_dual_add_f32 v255, src_scc, v255 :: v_dual_mov_b32 v7, -1 ; encoding: [0xfd,0x80,0x10,0xcf,0xc1,0x00,0xff,0x00,0xff,0x00,0x00,0x07]
// W64-ERR: :[[@LINE-2]]:1: error: instruction requires wavesize=32

v_dual_add_f32 v255, 0.5, v3 :: v_dual_mov_b32 v7, 0.5
// GFX1250: v_dual_add_f32 v255, 0.5, v3 :: v_dual_mov_b32 v7, 0.5 ; encoding: [0xf0,0x80,0x10,0xcf,0xf0,0x00,0x03,0x00,0xff,0x00,0x00,0x07]
// W64-ERR: :[[@LINE-2]]:1: error: instruction requires wavesize=32

v_dual_add_f32 v255, -1, v4 :: v_dual_mov_b32 v7, src_scc
// GFX1250: v_dual_add_f32 v255, -1, v4 :: v_dual_mov_b32 v7, src_scc ; encoding: [0xc1,0x80,0x10,0xcf,0xfd,0x00,0x04,0x00,0xff,0x00,0x00,0x07]
// W64-ERR: :[[@LINE-2]]:1: error: instruction requires wavesize=32

v_dual_add_f32 v255, v4, v2 :: v_dual_mul_dx9_zero_f32 v7, v1, v3
// GFX1250: v_dual_add_f32 v255, v4, v2 :: v_dual_mul_dx9_zero_f32 v7, v1, v3 ; encoding: [0x04,0x71,0x10,0xcf,0x01,0x01,0x02,0x00,0xff,0x03,0x00,0x07]
// W64-ERR: :[[@LINE-2]]:1: error: instruction requires wavesize=32

v_dual_add_f32 v255, v1, v2 :: v_dual_mul_dx9_zero_f32 v7, v255, v3
// GFX1250: v_dual_add_f32 v255, v1, v2 :: v_dual_mul_dx9_zero_f32 v7, v255, v3 ; encoding: [0x01,0x71,0x10,0xcf,0xff,0x01,0x02,0x00,0xff,0x03,0x00,0x07]
	;; [unrolled: 4-line block ×7, first 2 shown]
// W64-ERR: :[[@LINE-2]]:1: error: instruction requires wavesize=32

v_dual_add_f32 v255, ttmp15, v2 :: v_dual_mul_dx9_zero_f32 v7, vcc_lo, v3
// GFX1250: v_dual_add_f32 v255, ttmp15, v2 :: v_dual_mul_dx9_zero_f32 v7, vcc_lo, v3 ; encoding: [0x7b,0x70,0x10,0xcf,0x6a,0x00,0x02,0x00,0xff,0x03,0x00,0x07]
// W64-ERR: :[[@LINE-2]]:1: error: instruction requires wavesize=32

v_dual_add_f32 v255, exec_hi, v2 :: v_dual_mul_dx9_zero_f32 v7, vcc_hi, v3
// GFX1250: v_dual_add_f32 v255, exec_hi, v2 :: v_dual_mul_dx9_zero_f32 v7, vcc_hi, v3 ; encoding: [0x7f,0x70,0x10,0xcf,0x6b,0x00,0x02,0x00,0xff,0x03,0x00,0x07]
// W64-ERR: :[[@LINE-2]]:1: error: instruction requires wavesize=32

v_dual_add_f32 v255, exec_lo, v2 :: v_dual_mul_dx9_zero_f32 v7, ttmp15, v3
// GFX1250: v_dual_add_f32 v255, exec_lo, v2 :: v_dual_mul_dx9_zero_f32 v7, ttmp15, v3 ; encoding: [0x7e,0x70,0x10,0xcf,0x7b,0x00,0x02,0x00,0xff,0x03,0x00,0x07]
// W64-ERR: :[[@LINE-2]]:1: error: instruction requires wavesize=32

v_dual_add_f32 v255, m0, v2 :: v_dual_mul_dx9_zero_f32 v7, m0, v3
// GFX1250: v_dual_add_f32 v255, m0, v2 :: v_dual_mul_dx9_zero_f32 v7, m0, v3 ; encoding: [0x7d,0x70,0x10,0xcf,0x7d,0x00,0x02,0x00,0xff,0x03,0x00,0x07]
// W64-ERR: :[[@LINE-2]]:1: error: instruction requires wavesize=32

v_dual_add_f32 v255, vcc_hi, v2 :: v_dual_mul_dx9_zero_f32 v7, exec_lo, v3
// GFX1250: v_dual_add_f32 v255, vcc_hi, v2 :: v_dual_mul_dx9_zero_f32 v7, exec_lo, v3 ; encoding: [0x6b,0x70,0x10,0xcf,0x7e,0x00,0x02,0x00,0xff,0x03,0x00,0x07]
// W64-ERR: :[[@LINE-2]]:1: error: instruction requires wavesize=32

v_dual_add_f32 v255, vcc_lo, v2 :: v_dual_mul_dx9_zero_f32 v7, exec_hi, v3
// GFX1250: v_dual_add_f32 v255, vcc_lo, v2 :: v_dual_mul_dx9_zero_f32 v7, exec_hi, v3 ; encoding: [0x6a,0x70,0x10,0xcf,0x7f,0x00,0x02,0x00,0xff,0x03,0x00,0x07]
// W64-ERR: :[[@LINE-2]]:1: error: instruction requires wavesize=32

v_dual_add_f32 v255, src_scc, v2 :: v_dual_mul_dx9_zero_f32 v7, -1, v3
// GFX1250: v_dual_add_f32 v255, src_scc, v2 :: v_dual_mul_dx9_zero_f32 v7, -1, v3 ; encoding: [0xfd,0x70,0x10,0xcf,0xc1,0x00,0x02,0x00,0xff,0x03,0x00,0x07]
// W64-ERR: :[[@LINE-2]]:1: error: instruction requires wavesize=32

v_dual_add_f32 v255, 0.5, v3 :: v_dual_mul_dx9_zero_f32 v7, 0.5, v2
// GFX1250: v_dual_add_f32 v255, 0.5, v3 :: v_dual_mul_dx9_zero_f32 v7, 0.5, v2 ; encoding: [0xf0,0x70,0x10,0xcf,0xf0,0x00,0x03,0x00,0xff,0x02,0x00,0x07]
// W64-ERR: :[[@LINE-2]]:1: error: instruction requires wavesize=32

v_dual_add_f32 v255, -1, v4 :: v_dual_mul_dx9_zero_f32 v7, src_scc, v5
// GFX1250: v_dual_add_f32 v255, -1, v4 :: v_dual_mul_dx9_zero_f32 v7, src_scc, v5 ; encoding: [0xc1,0x70,0x10,0xcf,0xfd,0x00,0x04,0x00,0xff,0x05,0x00,0x07]
// W64-ERR: :[[@LINE-2]]:1: error: instruction requires wavesize=32

v_dual_add_f32 v255, v4, v2 :: v_dual_mul_f32 v7, v1, v3
// GFX1250: v_dual_add_f32 v255, v4, v2 :: v_dual_mul_f32 v7, v1, v3 ; encoding: [0x04,0x31,0x10,0xcf,0x01,0x01,0x02,0x00,0xff,0x03,0x00,0x07]
// W64-ERR: :[[@LINE-2]]:1: error: instruction requires wavesize=32

v_dual_add_f32 v255, v1, v2 :: v_dual_mul_f32 v7, v255, v3
// GFX1250: v_dual_add_f32 v255, v1, v2 :: v_dual_mul_f32 v7, v255, v3 ; encoding: [0x01,0x31,0x10,0xcf,0xff,0x01,0x02,0x00,0xff,0x03,0x00,0x07]
// W64-ERR: :[[@LINE-2]]:1: error: instruction requires wavesize=32

v_dual_add_f32 v255, v255, v2 :: v_dual_mul_f32 v7, v2, v3
// GFX1250: v_dual_add_f32 v255, v255, v2 :: v_dual_mul_f32 v7, v2, v3 ; encoding: [0xff,0x31,0x10,0xcf,0x02,0x01,0x02,0x00,0xff,0x03,0x00,0x07]
// W64-ERR: :[[@LINE-2]]:1: error: instruction requires wavesize=32

v_dual_add_f32 v255, v2, v2 :: v_dual_mul_f32 v7, v3, v3
// GFX1250: v_dual_add_f32 v255, v2, v2 :: v_dual_mul_f32 v7, v3, v3 ; encoding: [0x02,0x31,0x10,0xcf,0x03,0x01,0x02,0x00,0xff,0x03,0x00,0x07]
// W64-ERR: :[[@LINE-2]]:1: error: instruction requires wavesize=32

v_dual_add_f32 v255, v3, v2 :: v_dual_mul_f32 v7, v4, v3
// GFX1250: v_dual_add_f32 v255, v3, v2 :: v_dual_mul_f32 v7, v4, v3 ; encoding: [0x03,0x31,0x10,0xcf,0x04,0x01,0x02,0x00,0xff,0x03,0x00,0x07]
// W64-ERR: :[[@LINE-2]]:1: error: instruction requires wavesize=32

v_dual_add_f32 v255, s105, v2 :: v_dual_mul_f32 v7, s1, v3
// GFX1250: v_dual_add_f32 v255, s105, v2 :: v_dual_mul_f32 v7, s1, v3 ; encoding: [0x69,0x30,0x10,0xcf,0x01,0x00,0x02,0x00,0xff,0x03,0x00,0x07]
// W64-ERR: :[[@LINE-2]]:1: error: instruction requires wavesize=32

v_dual_add_f32 v255, s1, v2 :: v_dual_mul_f32 v7, s105, v3
// GFX1250: v_dual_add_f32 v255, s1, v2 :: v_dual_mul_f32 v7, s105, v3 ; encoding: [0x01,0x30,0x10,0xcf,0x69,0x00,0x02,0x00,0xff,0x03,0x00,0x07]
// W64-ERR: :[[@LINE-2]]:1: error: instruction requires wavesize=32

v_dual_add_f32 v255, ttmp15, v2 :: v_dual_mul_f32 v7, vcc_lo, v3
// GFX1250: v_dual_add_f32 v255, ttmp15, v2 :: v_dual_mul_f32 v7, vcc_lo, v3 ; encoding: [0x7b,0x30,0x10,0xcf,0x6a,0x00,0x02,0x00,0xff,0x03,0x00,0x07]
// W64-ERR: :[[@LINE-2]]:1: error: instruction requires wavesize=32

v_dual_add_f32 v255, exec_hi, v2 :: v_dual_mul_f32 v7, vcc_hi, v3
// GFX1250: v_dual_add_f32 v255, exec_hi, v2 :: v_dual_mul_f32 v7, vcc_hi, v3 ; encoding: [0x7f,0x30,0x10,0xcf,0x6b,0x00,0x02,0x00,0xff,0x03,0x00,0x07]
// W64-ERR: :[[@LINE-2]]:1: error: instruction requires wavesize=32

v_dual_add_f32 v255, exec_lo, v2 :: v_dual_mul_f32 v7, ttmp15, v3
// GFX1250: v_dual_add_f32 v255, exec_lo, v2 :: v_dual_mul_f32 v7, ttmp15, v3 ; encoding: [0x7e,0x30,0x10,0xcf,0x7b,0x00,0x02,0x00,0xff,0x03,0x00,0x07]
// W64-ERR: :[[@LINE-2]]:1: error: instruction requires wavesize=32

v_dual_add_f32 v255, m0, v2 :: v_dual_mul_f32 v7, m0, v3
// GFX1250: v_dual_add_f32 v255, m0, v2 :: v_dual_mul_f32 v7, m0, v3 ; encoding: [0x7d,0x30,0x10,0xcf,0x7d,0x00,0x02,0x00,0xff,0x03,0x00,0x07]
// W64-ERR: :[[@LINE-2]]:1: error: instruction requires wavesize=32

v_dual_add_f32 v255, vcc_hi, v2 :: v_dual_mul_f32 v7, exec_lo, v3
// GFX1250: v_dual_add_f32 v255, vcc_hi, v2 :: v_dual_mul_f32 v7, exec_lo, v3 ; encoding: [0x6b,0x30,0x10,0xcf,0x7e,0x00,0x02,0x00,0xff,0x03,0x00,0x07]
// W64-ERR: :[[@LINE-2]]:1: error: instruction requires wavesize=32

v_dual_add_f32 v255, vcc_lo, v2 :: v_dual_mul_f32 v7, exec_hi, v3
// GFX1250: v_dual_add_f32 v255, vcc_lo, v2 :: v_dual_mul_f32 v7, exec_hi, v3 ; encoding: [0x6a,0x30,0x10,0xcf,0x7f,0x00,0x02,0x00,0xff,0x03,0x00,0x07]
// W64-ERR: :[[@LINE-2]]:1: error: instruction requires wavesize=32

v_dual_add_f32 v255, src_scc, v2 :: v_dual_mul_f32 v7, -1, v3
// GFX1250: v_dual_add_f32 v255, src_scc, v2 :: v_dual_mul_f32 v7, -1, v3 ; encoding: [0xfd,0x30,0x10,0xcf,0xc1,0x00,0x02,0x00,0xff,0x03,0x00,0x07]
// W64-ERR: :[[@LINE-2]]:1: error: instruction requires wavesize=32

v_dual_add_f32 v255, 0.5, v3 :: v_dual_mul_f32 v7, 0.5, v2
// GFX1250: v_dual_add_f32 v255, 0.5, v3 :: v_dual_mul_f32 v7, 0.5, v2 ; encoding: [0xf0,0x30,0x10,0xcf,0xf0,0x00,0x03,0x00,0xff,0x02,0x00,0x07]
// W64-ERR: :[[@LINE-2]]:1: error: instruction requires wavesize=32

v_dual_add_f32 v255, -1, v4 :: v_dual_mul_f32 v7, src_scc, v5
// GFX1250: v_dual_add_f32 v255, -1, v4 :: v_dual_mul_f32 v7, src_scc, v5 ; encoding: [0xc1,0x30,0x10,0xcf,0xfd,0x00,0x04,0x00,0xff,0x05,0x00,0x07]
// W64-ERR: :[[@LINE-2]]:1: error: instruction requires wavesize=32

v_dual_add_f32 v255, v4, v2 :: v_dual_sub_f32 v7, v1, v3
// GFX1250: v_dual_add_f32 v255, v4, v2 :: v_dual_sub_f32 v7, v1, v3 ; encoding: [0x04,0x51,0x10,0xcf,0x01,0x01,0x02,0x00,0xff,0x03,0x00,0x07]
// W64-ERR: :[[@LINE-2]]:1: error: instruction requires wavesize=32

v_dual_add_f32 v255, v1, v2 :: v_dual_sub_f32 v7, v255, v3
// GFX1250: v_dual_add_f32 v255, v1, v2 :: v_dual_sub_f32 v7, v255, v3 ; encoding: [0x01,0x51,0x10,0xcf,0xff,0x01,0x02,0x00,0xff,0x03,0x00,0x07]
	;; [unrolled: 4-line block ×7, first 2 shown]
// W64-ERR: :[[@LINE-2]]:1: error: instruction requires wavesize=32

v_dual_add_f32 v255, ttmp15, v2 :: v_dual_sub_f32 v7, vcc_lo, v3
// GFX1250: v_dual_add_f32 v255, ttmp15, v2 :: v_dual_sub_f32 v7, vcc_lo, v3 ; encoding: [0x7b,0x50,0x10,0xcf,0x6a,0x00,0x02,0x00,0xff,0x03,0x00,0x07]
// W64-ERR: :[[@LINE-2]]:1: error: instruction requires wavesize=32

v_dual_add_f32 v255, exec_hi, v2 :: v_dual_sub_f32 v7, vcc_hi, v3
// GFX1250: v_dual_add_f32 v255, exec_hi, v2 :: v_dual_sub_f32 v7, vcc_hi, v3 ; encoding: [0x7f,0x50,0x10,0xcf,0x6b,0x00,0x02,0x00,0xff,0x03,0x00,0x07]
// W64-ERR: :[[@LINE-2]]:1: error: instruction requires wavesize=32

v_dual_add_f32 v255, exec_lo, v2 :: v_dual_sub_f32 v7, ttmp15, v3
// GFX1250: v_dual_add_f32 v255, exec_lo, v2 :: v_dual_sub_f32 v7, ttmp15, v3 ; encoding: [0x7e,0x50,0x10,0xcf,0x7b,0x00,0x02,0x00,0xff,0x03,0x00,0x07]
// W64-ERR: :[[@LINE-2]]:1: error: instruction requires wavesize=32

v_dual_add_f32 v255, m0, v2 :: v_dual_sub_f32 v7, m0, v3
// GFX1250: v_dual_add_f32 v255, m0, v2 :: v_dual_sub_f32 v7, m0, v3 ; encoding: [0x7d,0x50,0x10,0xcf,0x7d,0x00,0x02,0x00,0xff,0x03,0x00,0x07]
// W64-ERR: :[[@LINE-2]]:1: error: instruction requires wavesize=32

v_dual_add_f32 v255, vcc_hi, v2 :: v_dual_sub_f32 v7, exec_lo, v3
// GFX1250: v_dual_add_f32 v255, vcc_hi, v2 :: v_dual_sub_f32 v7, exec_lo, v3 ; encoding: [0x6b,0x50,0x10,0xcf,0x7e,0x00,0x02,0x00,0xff,0x03,0x00,0x07]
// W64-ERR: :[[@LINE-2]]:1: error: instruction requires wavesize=32

v_dual_add_f32 v255, vcc_lo, v2 :: v_dual_sub_f32 v7, exec_hi, v3
// GFX1250: v_dual_add_f32 v255, vcc_lo, v2 :: v_dual_sub_f32 v7, exec_hi, v3 ; encoding: [0x6a,0x50,0x10,0xcf,0x7f,0x00,0x02,0x00,0xff,0x03,0x00,0x07]
// W64-ERR: :[[@LINE-2]]:1: error: instruction requires wavesize=32

v_dual_add_f32 v255, src_scc, v2 :: v_dual_sub_f32 v7, -1, v3
// GFX1250: v_dual_add_f32 v255, src_scc, v2 :: v_dual_sub_f32 v7, -1, v3 ; encoding: [0xfd,0x50,0x10,0xcf,0xc1,0x00,0x02,0x00,0xff,0x03,0x00,0x07]
// W64-ERR: :[[@LINE-2]]:1: error: instruction requires wavesize=32

v_dual_add_f32 v255, 0.5, v3 :: v_dual_sub_f32 v7, 0.5, v2
// GFX1250: v_dual_add_f32 v255, 0.5, v3 :: v_dual_sub_f32 v7, 0.5, v2 ; encoding: [0xf0,0x50,0x10,0xcf,0xf0,0x00,0x03,0x00,0xff,0x02,0x00,0x07]
// W64-ERR: :[[@LINE-2]]:1: error: instruction requires wavesize=32

v_dual_add_f32 v255, -1, v4 :: v_dual_sub_f32 v7, src_scc, v5
// GFX1250: v_dual_add_f32 v255, -1, v4 :: v_dual_sub_f32 v7, src_scc, v5 ; encoding: [0xc1,0x50,0x10,0xcf,0xfd,0x00,0x04,0x00,0xff,0x05,0x00,0x07]
// W64-ERR: :[[@LINE-2]]:1: error: instruction requires wavesize=32

v_dual_add_f32 v255, v4, v2 :: v_dual_subrev_f32 v7, v1, v3
// GFX1250: v_dual_add_f32 v255, v4, v2 :: v_dual_subrev_f32 v7, v1, v3 ; encoding: [0x04,0x61,0x10,0xcf,0x01,0x01,0x02,0x00,0xff,0x03,0x00,0x07]
// W64-ERR: :[[@LINE-2]]:1: error: instruction requires wavesize=32

v_dual_add_f32 v255, v1, v2 :: v_dual_subrev_f32 v7, v255, v3
// GFX1250: v_dual_add_f32 v255, v1, v2 :: v_dual_subrev_f32 v7, v255, v3 ; encoding: [0x01,0x61,0x10,0xcf,0xff,0x01,0x02,0x00,0xff,0x03,0x00,0x07]
	;; [unrolled: 4-line block ×7, first 2 shown]
// W64-ERR: :[[@LINE-2]]:1: error: instruction requires wavesize=32

v_dual_add_f32 v255, ttmp15, v2 :: v_dual_subrev_f32 v7, vcc_lo, v3
// GFX1250: v_dual_add_f32 v255, ttmp15, v2 :: v_dual_subrev_f32 v7, vcc_lo, v3 ; encoding: [0x7b,0x60,0x10,0xcf,0x6a,0x00,0x02,0x00,0xff,0x03,0x00,0x07]
// W64-ERR: :[[@LINE-2]]:1: error: instruction requires wavesize=32

v_dual_add_f32 v255, exec_hi, v2 :: v_dual_subrev_f32 v7, vcc_hi, v3
// GFX1250: v_dual_add_f32 v255, exec_hi, v2 :: v_dual_subrev_f32 v7, vcc_hi, v3 ; encoding: [0x7f,0x60,0x10,0xcf,0x6b,0x00,0x02,0x00,0xff,0x03,0x00,0x07]
// W64-ERR: :[[@LINE-2]]:1: error: instruction requires wavesize=32

v_dual_add_f32 v255, exec_lo, v2 :: v_dual_subrev_f32 v7, ttmp15, v3
// GFX1250: v_dual_add_f32 v255, exec_lo, v2 :: v_dual_subrev_f32 v7, ttmp15, v3 ; encoding: [0x7e,0x60,0x10,0xcf,0x7b,0x00,0x02,0x00,0xff,0x03,0x00,0x07]
// W64-ERR: :[[@LINE-2]]:1: error: instruction requires wavesize=32

v_dual_add_f32 v255, m0, v2 :: v_dual_subrev_f32 v7, m0, v3
// GFX1250: v_dual_add_f32 v255, m0, v2 :: v_dual_subrev_f32 v7, m0, v3 ; encoding: [0x7d,0x60,0x10,0xcf,0x7d,0x00,0x02,0x00,0xff,0x03,0x00,0x07]
// W64-ERR: :[[@LINE-2]]:1: error: instruction requires wavesize=32

v_dual_add_f32 v255, vcc_hi, v2 :: v_dual_subrev_f32 v7, exec_lo, v3
// GFX1250: v_dual_add_f32 v255, vcc_hi, v2 :: v_dual_subrev_f32 v7, exec_lo, v3 ; encoding: [0x6b,0x60,0x10,0xcf,0x7e,0x00,0x02,0x00,0xff,0x03,0x00,0x07]
// W64-ERR: :[[@LINE-2]]:1: error: instruction requires wavesize=32

v_dual_add_f32 v255, vcc_lo, v2 :: v_dual_subrev_f32 v7, exec_hi, v3
// GFX1250: v_dual_add_f32 v255, vcc_lo, v2 :: v_dual_subrev_f32 v7, exec_hi, v3 ; encoding: [0x6a,0x60,0x10,0xcf,0x7f,0x00,0x02,0x00,0xff,0x03,0x00,0x07]
// W64-ERR: :[[@LINE-2]]:1: error: instruction requires wavesize=32

v_dual_add_f32 v255, src_scc, v2 :: v_dual_subrev_f32 v7, -1, v3
// GFX1250: v_dual_add_f32 v255, src_scc, v2 :: v_dual_subrev_f32 v7, -1, v3 ; encoding: [0xfd,0x60,0x10,0xcf,0xc1,0x00,0x02,0x00,0xff,0x03,0x00,0x07]
// W64-ERR: :[[@LINE-2]]:1: error: instruction requires wavesize=32

v_dual_add_f32 v255, 0.5, v3 :: v_dual_subrev_f32 v7, 0.5, v2
// GFX1250: v_dual_add_f32 v255, 0.5, v3 :: v_dual_subrev_f32 v7, 0.5, v2 ; encoding: [0xf0,0x60,0x10,0xcf,0xf0,0x00,0x03,0x00,0xff,0x02,0x00,0x07]
// W64-ERR: :[[@LINE-2]]:1: error: instruction requires wavesize=32

v_dual_add_f32 v255, -1, v4 :: v_dual_subrev_f32 v7, src_scc, v5
// GFX1250: v_dual_add_f32 v255, -1, v4 :: v_dual_subrev_f32 v7, src_scc, v5 ; encoding: [0xc1,0x60,0x10,0xcf,0xfd,0x00,0x04,0x00,0xff,0x05,0x00,0x07]
// W64-ERR: :[[@LINE-2]]:1: error: instruction requires wavesize=32

v_dual_add_f32 v255, v4, v2 :: v_dual_fma_f32 v7, v1, v3, v4
// GFX1250: v_dual_add_f32 v255, v4, v2 :: v_dual_fma_f32 v7, v1, v3, v4 ; encoding: [0x04,0x31,0x11,0xcf,0x01,0x01,0x02,0x00,0xff,0x03,0x04,0x07]
// W64-ERR: :[[@LINE-2]]:1: error: instruction requires wavesize=32

v_dual_add_f32 v255, v4, v2 :: v_dual_bitop2_b32 v7, v1, v3
// GFX1250: v_dual_add_f32 v255, v4, v2 :: v_dual_bitop2_b32 v7, v1, v3 ; encoding: [0x04,0x21,0x11,0xcf,0x01,0x01,0x02,0x00,0xff,0x03,0x00,0x07]
// W64-ERR: :[[@LINE-2]]:1: error: instruction requires wavesize=32

v_dual_cndmask_b32 v255, v4, v2, vcc_lo :: v_dual_add_f32 v7, v1, v3
// GFX1250: v_dual_cndmask_b32 v255, v4, v2, vcc_lo :: v_dual_add_f32 v7, v1, v3 ; encoding: [0x04,0x41,0x24,0xcf,0x01,0x01,0x02,0x6a,0xff,0x03,0x00,0x07]
// W64-ERR: :[[@LINE-2]]:1: error: instruction requires wavesize=32

v_dual_cndmask_b32 v255, v1, v2, vcc_lo :: v_dual_add_f32 v7, v255, v3
// GFX1250: v_dual_cndmask_b32 v255, v1, v2, vcc_lo :: v_dual_add_f32 v7, v255, v3 ; encoding: [0x01,0x41,0x24,0xcf,0xff,0x01,0x02,0x6a,0xff,0x03,0x00,0x07]
// W64-ERR: :[[@LINE-2]]:1: error: instruction requires wavesize=32

v_dual_cndmask_b32 v255, v255, v2, vcc_lo :: v_dual_add_f32 v7, v2, v3
// GFX1250: v_dual_cndmask_b32 v255, v255, v2, vcc_lo :: v_dual_add_f32 v7, v2, v3 ; encoding: [0xff,0x41,0x24,0xcf,0x02,0x01,0x02,0x6a,0xff,0x03,0x00,0x07]
// W64-ERR: :[[@LINE-2]]:1: error: instruction requires wavesize=32

v_dual_cndmask_b32 v255, v2, v2, vcc_lo :: v_dual_add_f32 v7, v3, v3
// GFX1250: v_dual_cndmask_b32 v255, v2, v2, vcc_lo :: v_dual_add_f32 v7, v3, v3 ; encoding: [0x02,0x41,0x24,0xcf,0x03,0x01,0x02,0x6a,0xff,0x03,0x00,0x07]
// W64-ERR: :[[@LINE-2]]:1: error: instruction requires wavesize=32

v_dual_cndmask_b32 v255, v3, v2, vcc_lo :: v_dual_add_f32 v7, v4, v3
// GFX1250: v_dual_cndmask_b32 v255, v3, v2, vcc_lo :: v_dual_add_f32 v7, v4, v3 ; encoding: [0x03,0x41,0x24,0xcf,0x04,0x01,0x02,0x6a,0xff,0x03,0x00,0x07]
// W64-ERR: :[[@LINE-2]]:1: error: instruction requires wavesize=32

v_dual_cndmask_b32 v255, s105, v2, vcc_lo :: v_dual_add_f32 v7, s105, v3
// GFX1250: v_dual_cndmask_b32 v255, s105, v2, vcc_lo :: v_dual_add_f32 v7, s105, v3 ; encoding: [0x69,0x40,0x24,0xcf,0x69,0x00,0x02,0x6a,0xff,0x03,0x00,0x07]
// W64-ERR: :[[@LINE-2]]:1: error: instruction requires wavesize=32

v_dual_cndmask_b32 v255, s1, v2, vcc_lo :: v_dual_add_f32 v7, s1, v3
// GFX1250: v_dual_cndmask_b32 v255, s1, v2, vcc_lo :: v_dual_add_f32 v7, s1, v3 ; encoding: [0x01,0x40,0x24,0xcf,0x01,0x00,0x02,0x6a,0xff,0x03,0x00,0x07]
// W64-ERR: :[[@LINE-2]]:1: error: instruction requires wavesize=32

v_dual_cndmask_b32 v255, ttmp15, v2, vcc_lo :: v_dual_add_f32 v7, ttmp15, v3
// GFX1250: v_dual_cndmask_b32 v255, ttmp15, v2, vcc_lo :: v_dual_add_f32 v7, ttmp15, v3 ; encoding: [0x7b,0x40,0x24,0xcf,0x7b,0x00,0x02,0x6a,0xff,0x03,0x00,0x07]
// W64-ERR: :[[@LINE-2]]:1: error: instruction requires wavesize=32

v_dual_cndmask_b32 v255, exec_hi, v2, vcc_lo :: v_dual_add_f32 v7, exec_hi, v3
// GFX1250: v_dual_cndmask_b32 v255, exec_hi, v2, vcc_lo :: v_dual_add_f32 v7, exec_hi, v3 ; encoding: [0x7f,0x40,0x24,0xcf,0x7f,0x00,0x02,0x6a,0xff,0x03,0x00,0x07]
// W64-ERR: :[[@LINE-2]]:1: error: instruction requires wavesize=32

v_dual_cndmask_b32 v255, exec_lo, v2, vcc_lo :: v_dual_add_f32 v7, exec_lo, v3
// GFX1250: v_dual_cndmask_b32 v255, exec_lo, v2, vcc_lo :: v_dual_add_f32 v7, exec_lo, v3 ; encoding: [0x7e,0x40,0x24,0xcf,0x7e,0x00,0x02,0x6a,0xff,0x03,0x00,0x07]
// W64-ERR: :[[@LINE-2]]:1: error: instruction requires wavesize=32

v_dual_cndmask_b32 v255, m0, v2, vcc_lo :: v_dual_add_f32 v7, m0, v3
// GFX1250: v_dual_cndmask_b32 v255, m0, v2, vcc_lo :: v_dual_add_f32 v7, m0, v3 ; encoding: [0x7d,0x40,0x24,0xcf,0x7d,0x00,0x02,0x6a,0xff,0x03,0x00,0x07]
// W64-ERR: :[[@LINE-2]]:1: error: instruction requires wavesize=32

v_dual_cndmask_b32 v255, vcc_hi, v2, vcc_lo :: v_dual_add_f32 v7, vcc_hi, v3
// GFX1250: v_dual_cndmask_b32 v255, vcc_hi, v2, vcc_lo :: v_dual_add_f32 v7, vcc_hi, v3 ; encoding: [0x6b,0x40,0x24,0xcf,0x6b,0x00,0x02,0x6a,0xff,0x03,0x00,0x07]
// W64-ERR: :[[@LINE-2]]:1: error: instruction requires wavesize=32

v_dual_cndmask_b32 v255, vcc_lo, v2, vcc_lo :: v_dual_add_f32 v7, vcc_lo, v3
// GFX1250: v_dual_cndmask_b32 v255, vcc_lo, v2, vcc_lo :: v_dual_add_f32 v7, vcc_lo, v3 ; encoding: [0x6a,0x40,0x24,0xcf,0x6a,0x00,0x02,0x6a,0xff,0x03,0x00,0x07]
// W64-ERR: :[[@LINE-2]]:1: error: instruction requires wavesize=32

v_dual_cndmask_b32 v255, src_scc, v2, vcc_lo :: v_dual_add_f32 v7, -1, v3
// GFX1250: v_dual_cndmask_b32 v255, src_scc, v2, vcc_lo :: v_dual_add_f32 v7, -1, v3 ; encoding: [0xfd,0x40,0x24,0xcf,0xc1,0x00,0x02,0x6a,0xff,0x03,0x00,0x07]
// W64-ERR: :[[@LINE-2]]:1: error: instruction requires wavesize=32

v_dual_cndmask_b32 v255, 0.5, v3, vcc_lo :: v_dual_add_f32 v7, 0.5, v2
// GFX1250: v_dual_cndmask_b32 v255, 0.5, v3, vcc_lo :: v_dual_add_f32 v7, 0.5, v2 ; encoding: [0xf0,0x40,0x24,0xcf,0xf0,0x00,0x03,0x6a,0xff,0x02,0x00,0x07]
// W64-ERR: :[[@LINE-2]]:1: error: instruction requires wavesize=32

v_dual_cndmask_b32 v255, -1, v4, vcc_lo :: v_dual_add_f32 v7, src_scc, v5
// GFX1250: v_dual_cndmask_b32 v255, -1, v4, vcc_lo :: v_dual_add_f32 v7, src_scc, v5 ; encoding: [0xc1,0x40,0x24,0xcf,0xfd,0x00,0x04,0x6a,0xff,0x05,0x00,0x07]
// W64-ERR: :[[@LINE-2]]:1: error: instruction requires wavesize=32

v_dual_cndmask_b32 v255, v4, v2, vcc_lo :: v_dual_add_nc_u32 v7, v1, v3
// GFX1250: v_dual_cndmask_b32 v255, v4, v2, vcc_lo :: v_dual_add_nc_u32 v7, v1, v3 ; encoding: [0x04,0x01,0x25,0xcf,0x01,0x01,0x02,0x6a,0xff,0x03,0x00,0x07]
// W64-ERR: :[[@LINE-2]]:1: error: instruction requires wavesize=32

v_dual_cndmask_b32 v255, v1, v2, vcc_lo :: v_dual_add_nc_u32 v7, v255, v3
// GFX1250: v_dual_cndmask_b32 v255, v1, v2, vcc_lo :: v_dual_add_nc_u32 v7, v255, v3 ; encoding: [0x01,0x01,0x25,0xcf,0xff,0x01,0x02,0x6a,0xff,0x03,0x00,0x07]
	;; [unrolled: 4-line block ×7, first 2 shown]
// W64-ERR: :[[@LINE-2]]:1: error: instruction requires wavesize=32

v_dual_cndmask_b32 v255, ttmp15, v2, vcc_lo :: v_dual_add_nc_u32 v7, ttmp15, v3
// GFX1250: v_dual_cndmask_b32 v255, ttmp15, v2, vcc_lo :: v_dual_add_nc_u32 v7, ttmp15, v3 ; encoding: [0x7b,0x00,0x25,0xcf,0x7b,0x00,0x02,0x6a,0xff,0x03,0x00,0x07]
// W64-ERR: :[[@LINE-2]]:1: error: instruction requires wavesize=32

v_dual_cndmask_b32 v255, exec_hi, v2, vcc_lo :: v_dual_add_nc_u32 v7, exec_hi, v3
// GFX1250: v_dual_cndmask_b32 v255, exec_hi, v2, vcc_lo :: v_dual_add_nc_u32 v7, exec_hi, v3 ; encoding: [0x7f,0x00,0x25,0xcf,0x7f,0x00,0x02,0x6a,0xff,0x03,0x00,0x07]
// W64-ERR: :[[@LINE-2]]:1: error: instruction requires wavesize=32

v_dual_cndmask_b32 v255, exec_lo, v2, vcc_lo :: v_dual_add_nc_u32 v7, exec_lo, v3
// GFX1250: v_dual_cndmask_b32 v255, exec_lo, v2, vcc_lo :: v_dual_add_nc_u32 v7, exec_lo, v3 ; encoding: [0x7e,0x00,0x25,0xcf,0x7e,0x00,0x02,0x6a,0xff,0x03,0x00,0x07]
// W64-ERR: :[[@LINE-2]]:1: error: instruction requires wavesize=32

v_dual_cndmask_b32 v255, m0, v2, vcc_lo :: v_dual_add_nc_u32 v7, m0, v3
// GFX1250: v_dual_cndmask_b32 v255, m0, v2, vcc_lo :: v_dual_add_nc_u32 v7, m0, v3 ; encoding: [0x7d,0x00,0x25,0xcf,0x7d,0x00,0x02,0x6a,0xff,0x03,0x00,0x07]
// W64-ERR: :[[@LINE-2]]:1: error: instruction requires wavesize=32

v_dual_cndmask_b32 v255, vcc_hi, v2, vcc_lo :: v_dual_add_nc_u32 v7, vcc_hi, v3
// GFX1250: v_dual_cndmask_b32 v255, vcc_hi, v2, vcc_lo :: v_dual_add_nc_u32 v7, vcc_hi, v3 ; encoding: [0x6b,0x00,0x25,0xcf,0x6b,0x00,0x02,0x6a,0xff,0x03,0x00,0x07]
// W64-ERR: :[[@LINE-2]]:1: error: instruction requires wavesize=32

v_dual_cndmask_b32 v255, vcc_lo, v2, vcc_lo :: v_dual_add_nc_u32 v7, vcc_lo, v3
// GFX1250: v_dual_cndmask_b32 v255, vcc_lo, v2, vcc_lo :: v_dual_add_nc_u32 v7, vcc_lo, v3 ; encoding: [0x6a,0x00,0x25,0xcf,0x6a,0x00,0x02,0x6a,0xff,0x03,0x00,0x07]
// W64-ERR: :[[@LINE-2]]:1: error: instruction requires wavesize=32

v_dual_cndmask_b32 v255, src_scc, v2, vcc_lo :: v_dual_add_nc_u32 v7, -1, v3
// GFX1250: v_dual_cndmask_b32 v255, src_scc, v2, vcc_lo :: v_dual_add_nc_u32 v7, -1, v3 ; encoding: [0xfd,0x00,0x25,0xcf,0xc1,0x00,0x02,0x6a,0xff,0x03,0x00,0x07]
// W64-ERR: :[[@LINE-2]]:1: error: instruction requires wavesize=32

v_dual_cndmask_b32 v255, 0.5, v3, vcc_lo :: v_dual_add_nc_u32 v7, 0.5, v2
// GFX1250: v_dual_cndmask_b32 v255, 0.5, v3, vcc_lo :: v_dual_add_nc_u32 v7, 0.5, v2 ; encoding: [0xf0,0x00,0x25,0xcf,0xf0,0x00,0x03,0x6a,0xff,0x02,0x00,0x07]
// W64-ERR: :[[@LINE-2]]:1: error: instruction requires wavesize=32

v_dual_cndmask_b32 v255, -1, v4, vcc_lo :: v_dual_add_nc_u32 v7, src_scc, v5
// GFX1250: v_dual_cndmask_b32 v255, -1, v4, vcc_lo :: v_dual_add_nc_u32 v7, src_scc, v5 ; encoding: [0xc1,0x00,0x25,0xcf,0xfd,0x00,0x04,0x6a,0xff,0x05,0x00,0x07]
// W64-ERR: :[[@LINE-2]]:1: error: instruction requires wavesize=32

v_dual_cndmask_b32 v255, v4, v2, vcc_lo :: v_dual_cndmask_b32 v7, v1, v3, vcc_lo
// GFX1250: v_dual_cndmask_b32 v255, v4, v2, vcc_lo :: v_dual_cndmask_b32 v7, v1, v3, vcc_lo ; encoding: [0x04,0x91,0x24,0xcf,0x01,0x01,0x02,0x6a,0xff,0x03,0x6a,0x07]
// W64-ERR: :[[@LINE-2]]:1: error: instruction requires wavesize=32

v_dual_cndmask_b32 v255, v1, v2, vcc_lo :: v_dual_cndmask_b32 v7, v255, v3, vcc_lo
// GFX1250: v_dual_cndmask_b32 v255, v1, v2, vcc_lo :: v_dual_cndmask_b32 v7, v255, v3, vcc_lo ; encoding: [0x01,0x91,0x24,0xcf,0xff,0x01,0x02,0x6a,0xff,0x03,0x6a,0x07]
	;; [unrolled: 4-line block ×7, first 2 shown]
// W64-ERR: :[[@LINE-2]]:1: error: instruction requires wavesize=32

v_dual_cndmask_b32 v255, ttmp15, v2, vcc_lo :: v_dual_cndmask_b32 v7, ttmp15, v3, vcc_lo
// GFX1250: v_dual_cndmask_b32 v255, ttmp15, v2, vcc_lo :: v_dual_cndmask_b32 v7, ttmp15, v3, vcc_lo ; encoding: [0x7b,0x90,0x24,0xcf,0x7b,0x00,0x02,0x6a,0xff,0x03,0x6a,0x07]
// W64-ERR: :[[@LINE-2]]:1: error: instruction requires wavesize=32

v_dual_cndmask_b32 v255, exec_hi, v2, vcc_lo :: v_dual_cndmask_b32 v7, exec_hi, v3, vcc_lo
// GFX1250: v_dual_cndmask_b32 v255, exec_hi, v2, vcc_lo :: v_dual_cndmask_b32 v7, exec_hi, v3, vcc_lo ; encoding: [0x7f,0x90,0x24,0xcf,0x7f,0x00,0x02,0x6a,0xff,0x03,0x6a,0x07]
// W64-ERR: :[[@LINE-2]]:1: error: instruction requires wavesize=32

v_dual_cndmask_b32 v255, exec_lo, v2, vcc_lo :: v_dual_cndmask_b32 v7, exec_lo, v3, vcc_lo
// GFX1250: v_dual_cndmask_b32 v255, exec_lo, v2, vcc_lo :: v_dual_cndmask_b32 v7, exec_lo, v3, vcc_lo ; encoding: [0x7e,0x90,0x24,0xcf,0x7e,0x00,0x02,0x6a,0xff,0x03,0x6a,0x07]
// W64-ERR: :[[@LINE-2]]:1: error: instruction requires wavesize=32

v_dual_cndmask_b32 v255, m0, v2, vcc_lo :: v_dual_cndmask_b32 v7, m0, v3, vcc_lo
// GFX1250: v_dual_cndmask_b32 v255, m0, v2, vcc_lo :: v_dual_cndmask_b32 v7, m0, v3, vcc_lo ; encoding: [0x7d,0x90,0x24,0xcf,0x7d,0x00,0x02,0x6a,0xff,0x03,0x6a,0x07]
// W64-ERR: :[[@LINE-2]]:1: error: instruction requires wavesize=32

v_dual_cndmask_b32 v255, vcc_hi, v2, vcc_lo :: v_dual_cndmask_b32 v7, vcc_hi, v3, vcc_lo
// GFX1250: v_dual_cndmask_b32 v255, vcc_hi, v2, vcc_lo :: v_dual_cndmask_b32 v7, vcc_hi, v3, vcc_lo ; encoding: [0x6b,0x90,0x24,0xcf,0x6b,0x00,0x02,0x6a,0xff,0x03,0x6a,0x07]
// W64-ERR: :[[@LINE-2]]:1: error: instruction requires wavesize=32

v_dual_cndmask_b32 v255, vcc_lo, v2, vcc_lo :: v_dual_cndmask_b32 v7, vcc_lo, v3, vcc_lo
// GFX1250: v_dual_cndmask_b32 v255, vcc_lo, v2, vcc_lo :: v_dual_cndmask_b32 v7, vcc_lo, v3, vcc_lo ; encoding: [0x6a,0x90,0x24,0xcf,0x6a,0x00,0x02,0x6a,0xff,0x03,0x6a,0x07]
// W64-ERR: :[[@LINE-2]]:1: error: instruction requires wavesize=32

v_dual_cndmask_b32 v255, src_scc, v2, vcc_lo :: v_dual_cndmask_b32 v7, -1, v3, vcc_lo
// GFX1250: v_dual_cndmask_b32 v255, src_scc, v2, vcc_lo :: v_dual_cndmask_b32 v7, -1, v3, vcc_lo ; encoding: [0xfd,0x90,0x24,0xcf,0xc1,0x00,0x02,0x6a,0xff,0x03,0x6a,0x07]
// W64-ERR: :[[@LINE-2]]:1: error: instruction requires wavesize=32

v_dual_cndmask_b32 v255, 0.5, v3, vcc_lo :: v_dual_cndmask_b32 v7, 0.5, v2, vcc_lo
// GFX1250: v_dual_cndmask_b32 v255, 0.5, v3, vcc_lo :: v_dual_cndmask_b32 v7, 0.5, v2, vcc_lo ; encoding: [0xf0,0x90,0x24,0xcf,0xf0,0x00,0x03,0x6a,0xff,0x02,0x6a,0x07]
// W64-ERR: :[[@LINE-2]]:1: error: instruction requires wavesize=32

v_dual_cndmask_b32 v255, -1, v4, vcc_lo :: v_dual_cndmask_b32 v7, src_scc, v5, vcc_lo
// GFX1250: v_dual_cndmask_b32 v255, -1, v4, vcc_lo :: v_dual_cndmask_b32 v7, src_scc, v5, vcc_lo ; encoding: [0xc1,0x90,0x24,0xcf,0xfd,0x00,0x04,0x6a,0xff,0x05,0x6a,0x07]
// W64-ERR: :[[@LINE-2]]:1: error: instruction requires wavesize=32

v_dual_cndmask_b32 v28, -v15, v15, s46 :: v_dual_cndmask_b32 v29, -v13, -v13, s46
// GFX1250: v_dual_cndmask_b32 v28, -v15, v15, s46 :: v_dual_cndmask_b32 v29, -v13, -v13, s46 ; encoding: [0x0f,0x91,0x24,0xcf,0x0d,0x33,0x0f,0x2e,0x1c,0x0d,0x2e,0x1d]
// W64-ERR: :[[@LINE-2]]:1: error: instruction requires wavesize=32

v_dual_cndmask_b32 v255, v4, v2, vcc_lo :: v_dual_fmac_f32 v7, v1, v3
// GFX1250: v_dual_cndmask_b32 v255, v4, v2, vcc_lo :: v_dual_fmac_f32 v7, v1, v3 ; encoding: [0x04,0x01,0x24,0xcf,0x01,0x01,0x02,0x6a,0xff,0x03,0x00,0x07]
// W64-ERR: :[[@LINE-2]]:1: error: instruction requires wavesize=32

v_dual_cndmask_b32 v255, v1, v2, vcc_lo :: v_dual_fmac_f32 v7, v255, v3
// GFX1250: v_dual_cndmask_b32 v255, v1, v2, vcc_lo :: v_dual_fmac_f32 v7, v255, v3 ; encoding: [0x01,0x01,0x24,0xcf,0xff,0x01,0x02,0x6a,0xff,0x03,0x00,0x07]
	;; [unrolled: 4-line block ×7, first 2 shown]
// W64-ERR: :[[@LINE-2]]:1: error: instruction requires wavesize=32

v_dual_cndmask_b32 v255, ttmp15, v2, vcc_lo :: v_dual_fmac_f32 v7, ttmp15, v3
// GFX1250: v_dual_cndmask_b32 v255, ttmp15, v2, vcc_lo :: v_dual_fmac_f32 v7, ttmp15, v3 ; encoding: [0x7b,0x00,0x24,0xcf,0x7b,0x00,0x02,0x6a,0xff,0x03,0x00,0x07]
// W64-ERR: :[[@LINE-2]]:1: error: instruction requires wavesize=32

v_dual_cndmask_b32 v255, exec_hi, v2, vcc_lo :: v_dual_fmac_f32 v7, exec_hi, v3
// GFX1250: v_dual_cndmask_b32 v255, exec_hi, v2, vcc_lo :: v_dual_fmac_f32 v7, exec_hi, v3 ; encoding: [0x7f,0x00,0x24,0xcf,0x7f,0x00,0x02,0x6a,0xff,0x03,0x00,0x07]
// W64-ERR: :[[@LINE-2]]:1: error: instruction requires wavesize=32

v_dual_cndmask_b32 v255, exec_lo, v2, vcc_lo :: v_dual_fmac_f32 v7, exec_lo, v3
// GFX1250: v_dual_cndmask_b32 v255, exec_lo, v2, vcc_lo :: v_dual_fmac_f32 v7, exec_lo, v3 ; encoding: [0x7e,0x00,0x24,0xcf,0x7e,0x00,0x02,0x6a,0xff,0x03,0x00,0x07]
// W64-ERR: :[[@LINE-2]]:1: error: instruction requires wavesize=32

v_dual_cndmask_b32 v255, m0, v2, vcc_lo :: v_dual_fmac_f32 v7, m0, v3
// GFX1250: v_dual_cndmask_b32 v255, m0, v2, vcc_lo :: v_dual_fmac_f32 v7, m0, v3 ; encoding: [0x7d,0x00,0x24,0xcf,0x7d,0x00,0x02,0x6a,0xff,0x03,0x00,0x07]
// W64-ERR: :[[@LINE-2]]:1: error: instruction requires wavesize=32

v_dual_cndmask_b32 v255, vcc_hi, v2, vcc_lo :: v_dual_fmac_f32 v7, vcc_hi, v3
// GFX1250: v_dual_cndmask_b32 v255, vcc_hi, v2, vcc_lo :: v_dual_fmac_f32 v7, vcc_hi, v3 ; encoding: [0x6b,0x00,0x24,0xcf,0x6b,0x00,0x02,0x6a,0xff,0x03,0x00,0x07]
// W64-ERR: :[[@LINE-2]]:1: error: instruction requires wavesize=32

v_dual_cndmask_b32 v255, vcc_lo, v2, vcc_lo :: v_dual_fmac_f32 v7, vcc_lo, v3
// GFX1250: v_dual_cndmask_b32 v255, vcc_lo, v2, vcc_lo :: v_dual_fmac_f32 v7, vcc_lo, v3 ; encoding: [0x6a,0x00,0x24,0xcf,0x6a,0x00,0x02,0x6a,0xff,0x03,0x00,0x07]
// W64-ERR: :[[@LINE-2]]:1: error: instruction requires wavesize=32

v_dual_cndmask_b32 v255, src_scc, v2, vcc_lo :: v_dual_fmac_f32 v7, -1, v3
// GFX1250: v_dual_cndmask_b32 v255, src_scc, v2, vcc_lo :: v_dual_fmac_f32 v7, -1, v3 ; encoding: [0xfd,0x00,0x24,0xcf,0xc1,0x00,0x02,0x6a,0xff,0x03,0x00,0x07]
// W64-ERR: :[[@LINE-2]]:1: error: instruction requires wavesize=32

v_dual_cndmask_b32 v255, 0.5, v3, vcc_lo :: v_dual_fmac_f32 v7, 0.5, v2
// GFX1250: v_dual_cndmask_b32 v255, 0.5, v3, vcc_lo :: v_dual_fmac_f32 v7, 0.5, v2 ; encoding: [0xf0,0x00,0x24,0xcf,0xf0,0x00,0x03,0x6a,0xff,0x02,0x00,0x07]
// W64-ERR: :[[@LINE-2]]:1: error: instruction requires wavesize=32

v_dual_cndmask_b32 v255, -1, v4, vcc_lo :: v_dual_fmac_f32 v7, src_scc, v5
// GFX1250: v_dual_cndmask_b32 v255, -1, v4, vcc_lo :: v_dual_fmac_f32 v7, src_scc, v5 ; encoding: [0xc1,0x00,0x24,0xcf,0xfd,0x00,0x04,0x6a,0xff,0x05,0x00,0x07]
// W64-ERR: :[[@LINE-2]]:1: error: instruction requires wavesize=32

v_dual_cndmask_b32 v255, v4, v2, vcc_lo :: v_dual_lshlrev_b32 v7, v1, v3
// GFX1250: v_dual_cndmask_b32 v255, v4, v2, vcc_lo :: v_dual_lshlrev_b32 v7, v1, v3 ; encoding: [0x04,0x11,0x25,0xcf,0x01,0x01,0x02,0x6a,0xff,0x03,0x00,0x07]
// W64-ERR: :[[@LINE-2]]:1: error: instruction requires wavesize=32

v_dual_cndmask_b32 v255, v1, v2, vcc_lo :: v_dual_lshlrev_b32 v7, v255, v3
// GFX1250: v_dual_cndmask_b32 v255, v1, v2, vcc_lo :: v_dual_lshlrev_b32 v7, v255, v3 ; encoding: [0x01,0x11,0x25,0xcf,0xff,0x01,0x02,0x6a,0xff,0x03,0x00,0x07]
// W64-ERR: :[[@LINE-2]]:1: error: instruction requires wavesize=32

v_dual_cndmask_b32 v255, v255, v2, vcc_lo :: v_dual_lshlrev_b32 v7, v2, v3
// GFX1250: v_dual_cndmask_b32 v255, v255, v2, vcc_lo :: v_dual_lshlrev_b32 v7, v2, v3 ; encoding: [0xff,0x11,0x25,0xcf,0x02,0x01,0x02,0x6a,0xff,0x03,0x00,0x07]
// W64-ERR: :[[@LINE-2]]:1: error: instruction requires wavesize=32

v_dual_cndmask_b32 v255, v2, v2, vcc_lo :: v_dual_lshlrev_b32 v7, v3, v3
// GFX1250: v_dual_cndmask_b32 v255, v2, v2, vcc_lo :: v_dual_lshlrev_b32 v7, v3, v3 ; encoding: [0x02,0x11,0x25,0xcf,0x03,0x01,0x02,0x6a,0xff,0x03,0x00,0x07]
// W64-ERR: :[[@LINE-2]]:1: error: instruction requires wavesize=32

v_dual_cndmask_b32 v255, v3, v2, vcc_lo :: v_dual_lshlrev_b32 v7, v4, v3
// GFX1250: v_dual_cndmask_b32 v255, v3, v2, vcc_lo :: v_dual_lshlrev_b32 v7, v4, v3 ; encoding: [0x03,0x11,0x25,0xcf,0x04,0x01,0x02,0x6a,0xff,0x03,0x00,0x07]
// W64-ERR: :[[@LINE-2]]:1: error: instruction requires wavesize=32

v_dual_cndmask_b32 v255, s105, v2, vcc_lo :: v_dual_lshlrev_b32 v7, s105, v3
// GFX1250: v_dual_cndmask_b32 v255, s105, v2, vcc_lo :: v_dual_lshlrev_b32 v7, s105, v3 ; encoding: [0x69,0x10,0x25,0xcf,0x69,0x00,0x02,0x6a,0xff,0x03,0x00,0x07]
// W64-ERR: :[[@LINE-2]]:1: error: instruction requires wavesize=32

v_dual_cndmask_b32 v255, s1, v2, vcc_lo :: v_dual_lshlrev_b32 v7, s1, v3
// GFX1250: v_dual_cndmask_b32 v255, s1, v2, vcc_lo :: v_dual_lshlrev_b32 v7, s1, v3 ; encoding: [0x01,0x10,0x25,0xcf,0x01,0x00,0x02,0x6a,0xff,0x03,0x00,0x07]
// W64-ERR: :[[@LINE-2]]:1: error: instruction requires wavesize=32

v_dual_cndmask_b32 v255, ttmp15, v2, vcc_lo :: v_dual_lshlrev_b32 v7, ttmp15, v3
// GFX1250: v_dual_cndmask_b32 v255, ttmp15, v2, vcc_lo :: v_dual_lshlrev_b32 v7, ttmp15, v3 ; encoding: [0x7b,0x10,0x25,0xcf,0x7b,0x00,0x02,0x6a,0xff,0x03,0x00,0x07]
// W64-ERR: :[[@LINE-2]]:1: error: instruction requires wavesize=32

v_dual_cndmask_b32 v255, exec_hi, v2, vcc_lo :: v_dual_lshlrev_b32 v7, exec_hi, v3
// GFX1250: v_dual_cndmask_b32 v255, exec_hi, v2, vcc_lo :: v_dual_lshlrev_b32 v7, exec_hi, v3 ; encoding: [0x7f,0x10,0x25,0xcf,0x7f,0x00,0x02,0x6a,0xff,0x03,0x00,0x07]
// W64-ERR: :[[@LINE-2]]:1: error: instruction requires wavesize=32

v_dual_cndmask_b32 v255, exec_lo, v2, vcc_lo :: v_dual_lshlrev_b32 v7, exec_lo, v3
// GFX1250: v_dual_cndmask_b32 v255, exec_lo, v2, vcc_lo :: v_dual_lshlrev_b32 v7, exec_lo, v3 ; encoding: [0x7e,0x10,0x25,0xcf,0x7e,0x00,0x02,0x6a,0xff,0x03,0x00,0x07]
// W64-ERR: :[[@LINE-2]]:1: error: instruction requires wavesize=32

v_dual_cndmask_b32 v255, m0, v2, vcc_lo :: v_dual_lshlrev_b32 v7, m0, v3
// GFX1250: v_dual_cndmask_b32 v255, m0, v2, vcc_lo :: v_dual_lshlrev_b32 v7, m0, v3 ; encoding: [0x7d,0x10,0x25,0xcf,0x7d,0x00,0x02,0x6a,0xff,0x03,0x00,0x07]
// W64-ERR: :[[@LINE-2]]:1: error: instruction requires wavesize=32

v_dual_cndmask_b32 v255, vcc_hi, v2, vcc_lo :: v_dual_lshlrev_b32 v7, vcc_hi, v3
// GFX1250: v_dual_cndmask_b32 v255, vcc_hi, v2, vcc_lo :: v_dual_lshlrev_b32 v7, vcc_hi, v3 ; encoding: [0x6b,0x10,0x25,0xcf,0x6b,0x00,0x02,0x6a,0xff,0x03,0x00,0x07]
// W64-ERR: :[[@LINE-2]]:1: error: instruction requires wavesize=32

v_dual_cndmask_b32 v255, vcc_lo, v2, vcc_lo :: v_dual_lshlrev_b32 v7, vcc_lo, v3
// GFX1250: v_dual_cndmask_b32 v255, vcc_lo, v2, vcc_lo :: v_dual_lshlrev_b32 v7, vcc_lo, v3 ; encoding: [0x6a,0x10,0x25,0xcf,0x6a,0x00,0x02,0x6a,0xff,0x03,0x00,0x07]
// W64-ERR: :[[@LINE-2]]:1: error: instruction requires wavesize=32

v_dual_cndmask_b32 v255, src_scc, v2, vcc_lo :: v_dual_lshlrev_b32 v7, -1, v3
// GFX1250: v_dual_cndmask_b32 v255, src_scc, v2, vcc_lo :: v_dual_lshlrev_b32 v7, -1, v3 ; encoding: [0xfd,0x10,0x25,0xcf,0xc1,0x00,0x02,0x6a,0xff,0x03,0x00,0x07]
// W64-ERR: :[[@LINE-2]]:1: error: instruction requires wavesize=32

v_dual_cndmask_b32 v255, 0.5, v3, vcc_lo :: v_dual_lshlrev_b32 v7, 0.5, v2
// GFX1250: v_dual_cndmask_b32 v255, 0.5, v3, vcc_lo :: v_dual_lshlrev_b32 v7, 0.5, v2 ; encoding: [0xf0,0x10,0x25,0xcf,0xf0,0x00,0x03,0x6a,0xff,0x02,0x00,0x07]
// W64-ERR: :[[@LINE-2]]:1: error: instruction requires wavesize=32

v_dual_cndmask_b32 v255, -1, v4, vcc_lo :: v_dual_lshlrev_b32 v7, src_scc, v5
// GFX1250: v_dual_cndmask_b32 v255, -1, v4, vcc_lo :: v_dual_lshlrev_b32 v7, src_scc, v5 ; encoding: [0xc1,0x10,0x25,0xcf,0xfd,0x00,0x04,0x6a,0xff,0x05,0x00,0x07]
// W64-ERR: :[[@LINE-2]]:1: error: instruction requires wavesize=32

v_dual_cndmask_b32 v255, v4, v2, vcc_lo :: v_dual_max_num_f32 v7, v1, v3
// GFX1250: v_dual_cndmask_b32 v255, v4, v2, vcc_lo :: v_dual_max_num_f32 v7, v1, v3 ; encoding: [0x04,0xa1,0x24,0xcf,0x01,0x01,0x02,0x6a,0xff,0x03,0x00,0x07]
// W64-ERR: :[[@LINE-2]]:1: error: instruction requires wavesize=32

v_dual_cndmask_b32 v255, v1, v2, vcc_lo :: v_dual_max_num_f32 v7, v255, v3
// GFX1250: v_dual_cndmask_b32 v255, v1, v2, vcc_lo :: v_dual_max_num_f32 v7, v255, v3 ; encoding: [0x01,0xa1,0x24,0xcf,0xff,0x01,0x02,0x6a,0xff,0x03,0x00,0x07]
	;; [unrolled: 4-line block ×7, first 2 shown]
// W64-ERR: :[[@LINE-2]]:1: error: instruction requires wavesize=32

v_dual_cndmask_b32 v255, ttmp15, v2, vcc_lo :: v_dual_max_num_f32 v7, ttmp15, v3
// GFX1250: v_dual_cndmask_b32 v255, ttmp15, v2, vcc_lo :: v_dual_max_num_f32 v7, ttmp15, v3 ; encoding: [0x7b,0xa0,0x24,0xcf,0x7b,0x00,0x02,0x6a,0xff,0x03,0x00,0x07]
// W64-ERR: :[[@LINE-2]]:1: error: instruction requires wavesize=32

v_dual_cndmask_b32 v255, exec_hi, v2, vcc_lo :: v_dual_max_num_f32 v7, exec_hi, v3
// GFX1250: v_dual_cndmask_b32 v255, exec_hi, v2, vcc_lo :: v_dual_max_num_f32 v7, exec_hi, v3 ; encoding: [0x7f,0xa0,0x24,0xcf,0x7f,0x00,0x02,0x6a,0xff,0x03,0x00,0x07]
// W64-ERR: :[[@LINE-2]]:1: error: instruction requires wavesize=32

v_dual_cndmask_b32 v255, exec_lo, v2, vcc_lo :: v_dual_max_num_f32 v7, exec_lo, v3
// GFX1250: v_dual_cndmask_b32 v255, exec_lo, v2, vcc_lo :: v_dual_max_num_f32 v7, exec_lo, v3 ; encoding: [0x7e,0xa0,0x24,0xcf,0x7e,0x00,0x02,0x6a,0xff,0x03,0x00,0x07]
// W64-ERR: :[[@LINE-2]]:1: error: instruction requires wavesize=32

v_dual_cndmask_b32 v255, m0, v2, vcc_lo :: v_dual_max_num_f32 v7, m0, v3
// GFX1250: v_dual_cndmask_b32 v255, m0, v2, vcc_lo :: v_dual_max_num_f32 v7, m0, v3 ; encoding: [0x7d,0xa0,0x24,0xcf,0x7d,0x00,0x02,0x6a,0xff,0x03,0x00,0x07]
// W64-ERR: :[[@LINE-2]]:1: error: instruction requires wavesize=32

v_dual_cndmask_b32 v255, vcc_hi, v2, vcc_lo :: v_dual_max_num_f32 v7, vcc_hi, v3
// GFX1250: v_dual_cndmask_b32 v255, vcc_hi, v2, vcc_lo :: v_dual_max_num_f32 v7, vcc_hi, v3 ; encoding: [0x6b,0xa0,0x24,0xcf,0x6b,0x00,0x02,0x6a,0xff,0x03,0x00,0x07]
// W64-ERR: :[[@LINE-2]]:1: error: instruction requires wavesize=32

v_dual_cndmask_b32 v255, vcc_lo, v2, vcc_lo :: v_dual_max_num_f32 v7, vcc_lo, v3
// GFX1250: v_dual_cndmask_b32 v255, vcc_lo, v2, vcc_lo :: v_dual_max_num_f32 v7, vcc_lo, v3 ; encoding: [0x6a,0xa0,0x24,0xcf,0x6a,0x00,0x02,0x6a,0xff,0x03,0x00,0x07]
// W64-ERR: :[[@LINE-2]]:1: error: instruction requires wavesize=32

v_dual_cndmask_b32 v255, src_scc, v2, vcc_lo :: v_dual_max_num_f32 v7, -1, v3
// GFX1250: v_dual_cndmask_b32 v255, src_scc, v2, vcc_lo :: v_dual_max_num_f32 v7, -1, v3 ; encoding: [0xfd,0xa0,0x24,0xcf,0xc1,0x00,0x02,0x6a,0xff,0x03,0x00,0x07]
// W64-ERR: :[[@LINE-2]]:1: error: instruction requires wavesize=32

v_dual_cndmask_b32 v255, 0.5, v3, vcc_lo :: v_dual_max_num_f32 v7, 0.5, v2
// GFX1250: v_dual_cndmask_b32 v255, 0.5, v3, vcc_lo :: v_dual_max_num_f32 v7, 0.5, v2 ; encoding: [0xf0,0xa0,0x24,0xcf,0xf0,0x00,0x03,0x6a,0xff,0x02,0x00,0x07]
// W64-ERR: :[[@LINE-2]]:1: error: instruction requires wavesize=32

v_dual_cndmask_b32 v255, -1, v4, vcc_lo :: v_dual_max_num_f32 v7, src_scc, v5
// GFX1250: v_dual_cndmask_b32 v255, -1, v4, vcc_lo :: v_dual_max_num_f32 v7, src_scc, v5 ; encoding: [0xc1,0xa0,0x24,0xcf,0xfd,0x00,0x04,0x6a,0xff,0x05,0x00,0x07]
// W64-ERR: :[[@LINE-2]]:1: error: instruction requires wavesize=32

v_dual_cndmask_b32 v255, v4, v2, vcc_lo :: v_dual_min_num_f32 v7, v1, v3
// GFX1250: v_dual_cndmask_b32 v255, v4, v2, vcc_lo :: v_dual_min_num_f32 v7, v1, v3 ; encoding: [0x04,0xb1,0x24,0xcf,0x01,0x01,0x02,0x6a,0xff,0x03,0x00,0x07]
// W64-ERR: :[[@LINE-2]]:1: error: instruction requires wavesize=32

v_dual_cndmask_b32 v255, v1, v2, vcc_lo :: v_dual_min_num_f32 v7, v255, v3
// GFX1250: v_dual_cndmask_b32 v255, v1, v2, vcc_lo :: v_dual_min_num_f32 v7, v255, v3 ; encoding: [0x01,0xb1,0x24,0xcf,0xff,0x01,0x02,0x6a,0xff,0x03,0x00,0x07]
	;; [unrolled: 4-line block ×7, first 2 shown]
// W64-ERR: :[[@LINE-2]]:1: error: instruction requires wavesize=32

v_dual_cndmask_b32 v255, ttmp15, v2, vcc_lo :: v_dual_min_num_f32 v7, ttmp15, v3
// GFX1250: v_dual_cndmask_b32 v255, ttmp15, v2, vcc_lo :: v_dual_min_num_f32 v7, ttmp15, v3 ; encoding: [0x7b,0xb0,0x24,0xcf,0x7b,0x00,0x02,0x6a,0xff,0x03,0x00,0x07]
// W64-ERR: :[[@LINE-2]]:1: error: instruction requires wavesize=32

v_dual_cndmask_b32 v255, exec_hi, v2, vcc_lo :: v_dual_min_num_f32 v7, exec_hi, v3
// GFX1250: v_dual_cndmask_b32 v255, exec_hi, v2, vcc_lo :: v_dual_min_num_f32 v7, exec_hi, v3 ; encoding: [0x7f,0xb0,0x24,0xcf,0x7f,0x00,0x02,0x6a,0xff,0x03,0x00,0x07]
// W64-ERR: :[[@LINE-2]]:1: error: instruction requires wavesize=32

v_dual_cndmask_b32 v255, exec_lo, v2, vcc_lo :: v_dual_min_num_f32 v7, exec_lo, v3
// GFX1250: v_dual_cndmask_b32 v255, exec_lo, v2, vcc_lo :: v_dual_min_num_f32 v7, exec_lo, v3 ; encoding: [0x7e,0xb0,0x24,0xcf,0x7e,0x00,0x02,0x6a,0xff,0x03,0x00,0x07]
// W64-ERR: :[[@LINE-2]]:1: error: instruction requires wavesize=32

v_dual_cndmask_b32 v255, m0, v2, vcc_lo :: v_dual_min_num_f32 v7, m0, v3
// GFX1250: v_dual_cndmask_b32 v255, m0, v2, vcc_lo :: v_dual_min_num_f32 v7, m0, v3 ; encoding: [0x7d,0xb0,0x24,0xcf,0x7d,0x00,0x02,0x6a,0xff,0x03,0x00,0x07]
// W64-ERR: :[[@LINE-2]]:1: error: instruction requires wavesize=32

v_dual_cndmask_b32 v255, vcc_hi, v2, vcc_lo :: v_dual_min_num_f32 v7, vcc_hi, v3
// GFX1250: v_dual_cndmask_b32 v255, vcc_hi, v2, vcc_lo :: v_dual_min_num_f32 v7, vcc_hi, v3 ; encoding: [0x6b,0xb0,0x24,0xcf,0x6b,0x00,0x02,0x6a,0xff,0x03,0x00,0x07]
// W64-ERR: :[[@LINE-2]]:1: error: instruction requires wavesize=32

v_dual_cndmask_b32 v255, vcc_lo, v2, vcc_lo :: v_dual_min_num_f32 v7, vcc_lo, v3
// GFX1250: v_dual_cndmask_b32 v255, vcc_lo, v2, vcc_lo :: v_dual_min_num_f32 v7, vcc_lo, v3 ; encoding: [0x6a,0xb0,0x24,0xcf,0x6a,0x00,0x02,0x6a,0xff,0x03,0x00,0x07]
// W64-ERR: :[[@LINE-2]]:1: error: instruction requires wavesize=32

v_dual_cndmask_b32 v255, src_scc, v2, vcc_lo :: v_dual_min_num_f32 v7, -1, v3
// GFX1250: v_dual_cndmask_b32 v255, src_scc, v2, vcc_lo :: v_dual_min_num_f32 v7, -1, v3 ; encoding: [0xfd,0xb0,0x24,0xcf,0xc1,0x00,0x02,0x6a,0xff,0x03,0x00,0x07]
// W64-ERR: :[[@LINE-2]]:1: error: instruction requires wavesize=32

v_dual_cndmask_b32 v255, 0.5, v3, vcc_lo :: v_dual_min_num_f32 v7, 0.5, v2
// GFX1250: v_dual_cndmask_b32 v255, 0.5, v3, vcc_lo :: v_dual_min_num_f32 v7, 0.5, v2 ; encoding: [0xf0,0xb0,0x24,0xcf,0xf0,0x00,0x03,0x6a,0xff,0x02,0x00,0x07]
// W64-ERR: :[[@LINE-2]]:1: error: instruction requires wavesize=32

v_dual_cndmask_b32 v255, -1, v4, vcc_lo :: v_dual_min_num_f32 v7, src_scc, v5
// GFX1250: v_dual_cndmask_b32 v255, -1, v4, vcc_lo :: v_dual_min_num_f32 v7, src_scc, v5 ; encoding: [0xc1,0xb0,0x24,0xcf,0xfd,0x00,0x04,0x6a,0xff,0x05,0x00,0x07]
// W64-ERR: :[[@LINE-2]]:1: error: instruction requires wavesize=32

v_dual_cndmask_b32 v255, v4, v255, vcc_lo :: v_dual_mov_b32 v7, v1
// GFX1250: v_dual_cndmask_b32 v255, v4, v255, vcc_lo :: v_dual_mov_b32 v7, v1 ; encoding: [0x04,0x81,0x24,0xcf,0x01,0x01,0xff,0x6a,0xff,0x00,0x00,0x07]
// W64-ERR: :[[@LINE-2]]:1: error: instruction requires wavesize=32

v_dual_cndmask_b32 v255, v1, v255, vcc_lo :: v_dual_mov_b32 v7, v255
// GFX1250: v_dual_cndmask_b32 v255, v1, v255, vcc_lo :: v_dual_mov_b32 v7, v255 ; encoding: [0x01,0x81,0x24,0xcf,0xff,0x01,0xff,0x6a,0xff,0x00,0x00,0x07]
	;; [unrolled: 4-line block ×7, first 2 shown]
// W64-ERR: :[[@LINE-2]]:1: error: instruction requires wavesize=32

v_dual_cndmask_b32 v255, ttmp15, v255, vcc_lo :: v_dual_mov_b32 v7, ttmp15
// GFX1250: v_dual_cndmask_b32 v255, ttmp15, v255, vcc_lo :: v_dual_mov_b32 v7, ttmp15 ; encoding: [0x7b,0x80,0x24,0xcf,0x7b,0x00,0xff,0x6a,0xff,0x00,0x00,0x07]
// W64-ERR: :[[@LINE-2]]:1: error: instruction requires wavesize=32

v_dual_cndmask_b32 v255, exec_hi, v255, vcc_lo :: v_dual_mov_b32 v7, exec_hi
// GFX1250: v_dual_cndmask_b32 v255, exec_hi, v255, vcc_lo :: v_dual_mov_b32 v7, exec_hi ; encoding: [0x7f,0x80,0x24,0xcf,0x7f,0x00,0xff,0x6a,0xff,0x00,0x00,0x07]
// W64-ERR: :[[@LINE-2]]:1: error: instruction requires wavesize=32

v_dual_cndmask_b32 v255, exec_lo, v255, vcc_lo :: v_dual_mov_b32 v7, exec_lo
// GFX1250: v_dual_cndmask_b32 v255, exec_lo, v255, vcc_lo :: v_dual_mov_b32 v7, exec_lo ; encoding: [0x7e,0x80,0x24,0xcf,0x7e,0x00,0xff,0x6a,0xff,0x00,0x00,0x07]
// W64-ERR: :[[@LINE-2]]:1: error: instruction requires wavesize=32

v_dual_cndmask_b32 v255, m0, v255, vcc_lo :: v_dual_mov_b32 v7, m0
// GFX1250: v_dual_cndmask_b32 v255, m0, v255, vcc_lo :: v_dual_mov_b32 v7, m0 ; encoding: [0x7d,0x80,0x24,0xcf,0x7d,0x00,0xff,0x6a,0xff,0x00,0x00,0x07]
// W64-ERR: :[[@LINE-2]]:1: error: instruction requires wavesize=32

v_dual_cndmask_b32 v255, vcc_hi, v255, vcc_lo :: v_dual_mov_b32 v7, vcc_hi
// GFX1250: v_dual_cndmask_b32 v255, vcc_hi, v255, vcc_lo :: v_dual_mov_b32 v7, vcc_hi ; encoding: [0x6b,0x80,0x24,0xcf,0x6b,0x00,0xff,0x6a,0xff,0x00,0x00,0x07]
// W64-ERR: :[[@LINE-2]]:1: error: instruction requires wavesize=32

v_dual_cndmask_b32 v255, vcc_lo, v255, vcc_lo :: v_dual_mov_b32 v7, vcc_lo
// GFX1250: v_dual_cndmask_b32 v255, vcc_lo, v255, vcc_lo :: v_dual_mov_b32 v7, vcc_lo ; encoding: [0x6a,0x80,0x24,0xcf,0x6a,0x00,0xff,0x6a,0xff,0x00,0x00,0x07]
// W64-ERR: :[[@LINE-2]]:1: error: instruction requires wavesize=32

v_dual_cndmask_b32 v255, src_scc, v255, vcc_lo :: v_dual_mov_b32 v7, -1
// GFX1250: v_dual_cndmask_b32 v255, src_scc, v255, vcc_lo :: v_dual_mov_b32 v7, -1 ; encoding: [0xfd,0x80,0x24,0xcf,0xc1,0x00,0xff,0x6a,0xff,0x00,0x00,0x07]
// W64-ERR: :[[@LINE-2]]:1: error: instruction requires wavesize=32

v_dual_cndmask_b32 v255, 0.5, v3, vcc_lo :: v_dual_mov_b32 v7, 0.5
// GFX1250: v_dual_cndmask_b32 v255, 0.5, v3, vcc_lo :: v_dual_mov_b32 v7, 0.5 ; encoding: [0xf0,0x80,0x24,0xcf,0xf0,0x00,0x03,0x6a,0xff,0x00,0x00,0x07]
// W64-ERR: :[[@LINE-2]]:1: error: instruction requires wavesize=32

v_dual_cndmask_b32 v255, -1, v4, vcc_lo :: v_dual_mov_b32 v7, src_scc
// GFX1250: v_dual_cndmask_b32 v255, -1, v4, vcc_lo :: v_dual_mov_b32 v7, src_scc ; encoding: [0xc1,0x80,0x24,0xcf,0xfd,0x00,0x04,0x6a,0xff,0x00,0x00,0x07]
// W64-ERR: :[[@LINE-2]]:1: error: instruction requires wavesize=32

v_dual_cndmask_b32 v255, v4, v2, vcc_lo :: v_dual_mul_dx9_zero_f32 v7, v1, v3
// GFX1250: v_dual_cndmask_b32 v255, v4, v2, vcc_lo :: v_dual_mul_dx9_zero_f32 v7, v1, v3 ; encoding: [0x04,0x71,0x24,0xcf,0x01,0x01,0x02,0x6a,0xff,0x03,0x00,0x07]
// W64-ERR: :[[@LINE-2]]:1: error: instruction requires wavesize=32

v_dual_cndmask_b32 v255, v1, v2, vcc_lo :: v_dual_mul_dx9_zero_f32 v7, v255, v3
// GFX1250: v_dual_cndmask_b32 v255, v1, v2, vcc_lo :: v_dual_mul_dx9_zero_f32 v7, v255, v3 ; encoding: [0x01,0x71,0x24,0xcf,0xff,0x01,0x02,0x6a,0xff,0x03,0x00,0x07]
	;; [unrolled: 4-line block ×7, first 2 shown]
// W64-ERR: :[[@LINE-2]]:1: error: instruction requires wavesize=32

v_dual_cndmask_b32 v255, ttmp15, v2, vcc_lo :: v_dual_mul_dx9_zero_f32 v7, ttmp15, v3
// GFX1250: v_dual_cndmask_b32 v255, ttmp15, v2, vcc_lo :: v_dual_mul_dx9_zero_f32 v7, ttmp15, v3 ; encoding: [0x7b,0x70,0x24,0xcf,0x7b,0x00,0x02,0x6a,0xff,0x03,0x00,0x07]
// W64-ERR: :[[@LINE-2]]:1: error: instruction requires wavesize=32

v_dual_cndmask_b32 v255, exec_hi, v2, vcc_lo :: v_dual_mul_dx9_zero_f32 v7, exec_hi, v3
// GFX1250: v_dual_cndmask_b32 v255, exec_hi, v2, vcc_lo :: v_dual_mul_dx9_zero_f32 v7, exec_hi, v3 ; encoding: [0x7f,0x70,0x24,0xcf,0x7f,0x00,0x02,0x6a,0xff,0x03,0x00,0x07]
// W64-ERR: :[[@LINE-2]]:1: error: instruction requires wavesize=32

v_dual_cndmask_b32 v255, exec_lo, v2, vcc_lo :: v_dual_mul_dx9_zero_f32 v7, exec_lo, v3
// GFX1250: v_dual_cndmask_b32 v255, exec_lo, v2, vcc_lo :: v_dual_mul_dx9_zero_f32 v7, exec_lo, v3 ; encoding: [0x7e,0x70,0x24,0xcf,0x7e,0x00,0x02,0x6a,0xff,0x03,0x00,0x07]
// W64-ERR: :[[@LINE-2]]:1: error: instruction requires wavesize=32

v_dual_cndmask_b32 v255, m0, v2, vcc_lo :: v_dual_mul_dx9_zero_f32 v7, m0, v3
// GFX1250: v_dual_cndmask_b32 v255, m0, v2, vcc_lo :: v_dual_mul_dx9_zero_f32 v7, m0, v3 ; encoding: [0x7d,0x70,0x24,0xcf,0x7d,0x00,0x02,0x6a,0xff,0x03,0x00,0x07]
// W64-ERR: :[[@LINE-2]]:1: error: instruction requires wavesize=32

v_dual_cndmask_b32 v255, vcc_hi, v2, vcc_lo :: v_dual_mul_dx9_zero_f32 v7, vcc_hi, v3
// GFX1250: v_dual_cndmask_b32 v255, vcc_hi, v2, vcc_lo :: v_dual_mul_dx9_zero_f32 v7, vcc_hi, v3 ; encoding: [0x6b,0x70,0x24,0xcf,0x6b,0x00,0x02,0x6a,0xff,0x03,0x00,0x07]
// W64-ERR: :[[@LINE-2]]:1: error: instruction requires wavesize=32

v_dual_cndmask_b32 v255, vcc_lo, v2, vcc_lo :: v_dual_mul_dx9_zero_f32 v7, vcc_lo, v3
// GFX1250: v_dual_cndmask_b32 v255, vcc_lo, v2, vcc_lo :: v_dual_mul_dx9_zero_f32 v7, vcc_lo, v3 ; encoding: [0x6a,0x70,0x24,0xcf,0x6a,0x00,0x02,0x6a,0xff,0x03,0x00,0x07]
// W64-ERR: :[[@LINE-2]]:1: error: instruction requires wavesize=32

v_dual_cndmask_b32 v255, src_scc, v2, vcc_lo :: v_dual_mul_dx9_zero_f32 v7, -1, v3
// GFX1250: v_dual_cndmask_b32 v255, src_scc, v2, vcc_lo :: v_dual_mul_dx9_zero_f32 v7, -1, v3 ; encoding: [0xfd,0x70,0x24,0xcf,0xc1,0x00,0x02,0x6a,0xff,0x03,0x00,0x07]
// W64-ERR: :[[@LINE-2]]:1: error: instruction requires wavesize=32

v_dual_cndmask_b32 v255, 0.5, v3, vcc_lo :: v_dual_mul_dx9_zero_f32 v7, 0.5, v2
// GFX1250: v_dual_cndmask_b32 v255, 0.5, v3, vcc_lo :: v_dual_mul_dx9_zero_f32 v7, 0.5, v2 ; encoding: [0xf0,0x70,0x24,0xcf,0xf0,0x00,0x03,0x6a,0xff,0x02,0x00,0x07]
// W64-ERR: :[[@LINE-2]]:1: error: instruction requires wavesize=32

v_dual_cndmask_b32 v255, -1, v4, vcc_lo :: v_dual_mul_dx9_zero_f32 v7, src_scc, v5
// GFX1250: v_dual_cndmask_b32 v255, -1, v4, vcc_lo :: v_dual_mul_dx9_zero_f32 v7, src_scc, v5 ; encoding: [0xc1,0x70,0x24,0xcf,0xfd,0x00,0x04,0x6a,0xff,0x05,0x00,0x07]
// W64-ERR: :[[@LINE-2]]:1: error: instruction requires wavesize=32

v_dual_cndmask_b32 v255, v4, v2, vcc_lo :: v_dual_mul_f32 v7, v1, v3
// GFX1250: v_dual_cndmask_b32 v255, v4, v2, vcc_lo :: v_dual_mul_f32 v7, v1, v3 ; encoding: [0x04,0x31,0x24,0xcf,0x01,0x01,0x02,0x6a,0xff,0x03,0x00,0x07]
// W64-ERR: :[[@LINE-2]]:1: error: instruction requires wavesize=32

v_dual_cndmask_b32 v255, v1, v2, vcc_lo :: v_dual_mul_f32 v7, v255, v3
// GFX1250: v_dual_cndmask_b32 v255, v1, v2, vcc_lo :: v_dual_mul_f32 v7, v255, v3 ; encoding: [0x01,0x31,0x24,0xcf,0xff,0x01,0x02,0x6a,0xff,0x03,0x00,0x07]
	;; [unrolled: 4-line block ×7, first 2 shown]
// W64-ERR: :[[@LINE-2]]:1: error: instruction requires wavesize=32

v_dual_cndmask_b32 v255, ttmp15, v2, vcc_lo :: v_dual_mul_f32 v7, ttmp15, v3
// GFX1250: v_dual_cndmask_b32 v255, ttmp15, v2, vcc_lo :: v_dual_mul_f32 v7, ttmp15, v3 ; encoding: [0x7b,0x30,0x24,0xcf,0x7b,0x00,0x02,0x6a,0xff,0x03,0x00,0x07]
// W64-ERR: :[[@LINE-2]]:1: error: instruction requires wavesize=32

v_dual_cndmask_b32 v255, exec_hi, v2, vcc_lo :: v_dual_mul_f32 v7, exec_hi, v3
// GFX1250: v_dual_cndmask_b32 v255, exec_hi, v2, vcc_lo :: v_dual_mul_f32 v7, exec_hi, v3 ; encoding: [0x7f,0x30,0x24,0xcf,0x7f,0x00,0x02,0x6a,0xff,0x03,0x00,0x07]
// W64-ERR: :[[@LINE-2]]:1: error: instruction requires wavesize=32

v_dual_cndmask_b32 v255, exec_lo, v2, vcc_lo :: v_dual_mul_f32 v7, exec_lo, v3
// GFX1250: v_dual_cndmask_b32 v255, exec_lo, v2, vcc_lo :: v_dual_mul_f32 v7, exec_lo, v3 ; encoding: [0x7e,0x30,0x24,0xcf,0x7e,0x00,0x02,0x6a,0xff,0x03,0x00,0x07]
// W64-ERR: :[[@LINE-2]]:1: error: instruction requires wavesize=32

v_dual_cndmask_b32 v255, m0, v2, vcc_lo :: v_dual_mul_f32 v7, m0, v3
// GFX1250: v_dual_cndmask_b32 v255, m0, v2, vcc_lo :: v_dual_mul_f32 v7, m0, v3 ; encoding: [0x7d,0x30,0x24,0xcf,0x7d,0x00,0x02,0x6a,0xff,0x03,0x00,0x07]
// W64-ERR: :[[@LINE-2]]:1: error: instruction requires wavesize=32

v_dual_cndmask_b32 v255, vcc_hi, v2, vcc_lo :: v_dual_mul_f32 v7, vcc_hi, v3
// GFX1250: v_dual_cndmask_b32 v255, vcc_hi, v2, vcc_lo :: v_dual_mul_f32 v7, vcc_hi, v3 ; encoding: [0x6b,0x30,0x24,0xcf,0x6b,0x00,0x02,0x6a,0xff,0x03,0x00,0x07]
// W64-ERR: :[[@LINE-2]]:1: error: instruction requires wavesize=32

v_dual_cndmask_b32 v255, vcc_lo, v2, vcc_lo :: v_dual_mul_f32 v7, vcc_lo, v3
// GFX1250: v_dual_cndmask_b32 v255, vcc_lo, v2, vcc_lo :: v_dual_mul_f32 v7, vcc_lo, v3 ; encoding: [0x6a,0x30,0x24,0xcf,0x6a,0x00,0x02,0x6a,0xff,0x03,0x00,0x07]
// W64-ERR: :[[@LINE-2]]:1: error: instruction requires wavesize=32

v_dual_cndmask_b32 v255, src_scc, v2, vcc_lo :: v_dual_mul_f32 v7, -1, v3
// GFX1250: v_dual_cndmask_b32 v255, src_scc, v2, vcc_lo :: v_dual_mul_f32 v7, -1, v3 ; encoding: [0xfd,0x30,0x24,0xcf,0xc1,0x00,0x02,0x6a,0xff,0x03,0x00,0x07]
// W64-ERR: :[[@LINE-2]]:1: error: instruction requires wavesize=32

v_dual_cndmask_b32 v255, 0.5, v3, vcc_lo :: v_dual_mul_f32 v7, 0.5, v2
// GFX1250: v_dual_cndmask_b32 v255, 0.5, v3, vcc_lo :: v_dual_mul_f32 v7, 0.5, v2 ; encoding: [0xf0,0x30,0x24,0xcf,0xf0,0x00,0x03,0x6a,0xff,0x02,0x00,0x07]
// W64-ERR: :[[@LINE-2]]:1: error: instruction requires wavesize=32

v_dual_cndmask_b32 v255, -1, v4, vcc_lo :: v_dual_mul_f32 v7, src_scc, v5
// GFX1250: v_dual_cndmask_b32 v255, -1, v4, vcc_lo :: v_dual_mul_f32 v7, src_scc, v5 ; encoding: [0xc1,0x30,0x24,0xcf,0xfd,0x00,0x04,0x6a,0xff,0x05,0x00,0x07]
// W64-ERR: :[[@LINE-2]]:1: error: instruction requires wavesize=32

v_dual_cndmask_b32 v255, v4, v2, vcc_lo :: v_dual_sub_f32 v7, v1, v3
// GFX1250: v_dual_cndmask_b32 v255, v4, v2, vcc_lo :: v_dual_sub_f32 v7, v1, v3 ; encoding: [0x04,0x51,0x24,0xcf,0x01,0x01,0x02,0x6a,0xff,0x03,0x00,0x07]
// W64-ERR: :[[@LINE-2]]:1: error: instruction requires wavesize=32

v_dual_cndmask_b32 v255, v1, v2, vcc_lo :: v_dual_sub_f32 v7, v255, v3
// GFX1250: v_dual_cndmask_b32 v255, v1, v2, vcc_lo :: v_dual_sub_f32 v7, v255, v3 ; encoding: [0x01,0x51,0x24,0xcf,0xff,0x01,0x02,0x6a,0xff,0x03,0x00,0x07]
	;; [unrolled: 4-line block ×7, first 2 shown]
// W64-ERR: :[[@LINE-2]]:1: error: instruction requires wavesize=32

v_dual_cndmask_b32 v255, ttmp15, v2, vcc_lo :: v_dual_sub_f32 v7, ttmp15, v3
// GFX1250: v_dual_cndmask_b32 v255, ttmp15, v2, vcc_lo :: v_dual_sub_f32 v7, ttmp15, v3 ; encoding: [0x7b,0x50,0x24,0xcf,0x7b,0x00,0x02,0x6a,0xff,0x03,0x00,0x07]
// W64-ERR: :[[@LINE-2]]:1: error: instruction requires wavesize=32

v_dual_cndmask_b32 v255, exec_hi, v2, vcc_lo :: v_dual_sub_f32 v7, exec_hi, v3
// GFX1250: v_dual_cndmask_b32 v255, exec_hi, v2, vcc_lo :: v_dual_sub_f32 v7, exec_hi, v3 ; encoding: [0x7f,0x50,0x24,0xcf,0x7f,0x00,0x02,0x6a,0xff,0x03,0x00,0x07]
// W64-ERR: :[[@LINE-2]]:1: error: instruction requires wavesize=32

v_dual_cndmask_b32 v255, exec_lo, v2, vcc_lo :: v_dual_sub_f32 v7, exec_lo, v3
// GFX1250: v_dual_cndmask_b32 v255, exec_lo, v2, vcc_lo :: v_dual_sub_f32 v7, exec_lo, v3 ; encoding: [0x7e,0x50,0x24,0xcf,0x7e,0x00,0x02,0x6a,0xff,0x03,0x00,0x07]
// W64-ERR: :[[@LINE-2]]:1: error: instruction requires wavesize=32

v_dual_cndmask_b32 v255, m0, v2, vcc_lo :: v_dual_sub_f32 v7, m0, v3
// GFX1250: v_dual_cndmask_b32 v255, m0, v2, vcc_lo :: v_dual_sub_f32 v7, m0, v3 ; encoding: [0x7d,0x50,0x24,0xcf,0x7d,0x00,0x02,0x6a,0xff,0x03,0x00,0x07]
// W64-ERR: :[[@LINE-2]]:1: error: instruction requires wavesize=32

v_dual_cndmask_b32 v255, vcc_hi, v2, vcc_lo :: v_dual_sub_f32 v7, vcc_hi, v3
// GFX1250: v_dual_cndmask_b32 v255, vcc_hi, v2, vcc_lo :: v_dual_sub_f32 v7, vcc_hi, v3 ; encoding: [0x6b,0x50,0x24,0xcf,0x6b,0x00,0x02,0x6a,0xff,0x03,0x00,0x07]
// W64-ERR: :[[@LINE-2]]:1: error: instruction requires wavesize=32

v_dual_cndmask_b32 v255, vcc_lo, v2, vcc_lo :: v_dual_sub_f32 v7, vcc_lo, v3
// GFX1250: v_dual_cndmask_b32 v255, vcc_lo, v2, vcc_lo :: v_dual_sub_f32 v7, vcc_lo, v3 ; encoding: [0x6a,0x50,0x24,0xcf,0x6a,0x00,0x02,0x6a,0xff,0x03,0x00,0x07]
// W64-ERR: :[[@LINE-2]]:1: error: instruction requires wavesize=32

v_dual_cndmask_b32 v255, src_scc, v2, vcc_lo :: v_dual_sub_f32 v7, -1, v3
// GFX1250: v_dual_cndmask_b32 v255, src_scc, v2, vcc_lo :: v_dual_sub_f32 v7, -1, v3 ; encoding: [0xfd,0x50,0x24,0xcf,0xc1,0x00,0x02,0x6a,0xff,0x03,0x00,0x07]
// W64-ERR: :[[@LINE-2]]:1: error: instruction requires wavesize=32

v_dual_cndmask_b32 v255, 0.5, v3, vcc_lo :: v_dual_sub_f32 v7, 0.5, v2
// GFX1250: v_dual_cndmask_b32 v255, 0.5, v3, vcc_lo :: v_dual_sub_f32 v7, 0.5, v2 ; encoding: [0xf0,0x50,0x24,0xcf,0xf0,0x00,0x03,0x6a,0xff,0x02,0x00,0x07]
// W64-ERR: :[[@LINE-2]]:1: error: instruction requires wavesize=32

v_dual_cndmask_b32 v255, -1, v4, vcc_lo :: v_dual_sub_f32 v7, src_scc, v5
// GFX1250: v_dual_cndmask_b32 v255, -1, v4, vcc_lo :: v_dual_sub_f32 v7, src_scc, v5 ; encoding: [0xc1,0x50,0x24,0xcf,0xfd,0x00,0x04,0x6a,0xff,0x05,0x00,0x07]
// W64-ERR: :[[@LINE-2]]:1: error: instruction requires wavesize=32

v_dual_cndmask_b32 v255, v4, v2, vcc_lo :: v_dual_subrev_f32 v7, v1, v3
// GFX1250: v_dual_cndmask_b32 v255, v4, v2, vcc_lo :: v_dual_subrev_f32 v7, v1, v3 ; encoding: [0x04,0x61,0x24,0xcf,0x01,0x01,0x02,0x6a,0xff,0x03,0x00,0x07]
// W64-ERR: :[[@LINE-2]]:1: error: instruction requires wavesize=32

v_dual_cndmask_b32 v255, v1, v2, vcc_lo :: v_dual_subrev_f32 v7, v255, v3
// GFX1250: v_dual_cndmask_b32 v255, v1, v2, vcc_lo :: v_dual_subrev_f32 v7, v255, v3 ; encoding: [0x01,0x61,0x24,0xcf,0xff,0x01,0x02,0x6a,0xff,0x03,0x00,0x07]
	;; [unrolled: 4-line block ×7, first 2 shown]
// W64-ERR: :[[@LINE-2]]:1: error: instruction requires wavesize=32

v_dual_cndmask_b32 v255, ttmp15, v2, vcc_lo :: v_dual_subrev_f32 v7, ttmp15, v3
// GFX1250: v_dual_cndmask_b32 v255, ttmp15, v2, vcc_lo :: v_dual_subrev_f32 v7, ttmp15, v3 ; encoding: [0x7b,0x60,0x24,0xcf,0x7b,0x00,0x02,0x6a,0xff,0x03,0x00,0x07]
// W64-ERR: :[[@LINE-2]]:1: error: instruction requires wavesize=32

v_dual_cndmask_b32 v255, exec_hi, v2, vcc_lo :: v_dual_subrev_f32 v7, exec_hi, v3
// GFX1250: v_dual_cndmask_b32 v255, exec_hi, v2, vcc_lo :: v_dual_subrev_f32 v7, exec_hi, v3 ; encoding: [0x7f,0x60,0x24,0xcf,0x7f,0x00,0x02,0x6a,0xff,0x03,0x00,0x07]
// W64-ERR: :[[@LINE-2]]:1: error: instruction requires wavesize=32

v_dual_cndmask_b32 v255, exec_lo, v2, vcc_lo :: v_dual_subrev_f32 v7, exec_lo, v3
// GFX1250: v_dual_cndmask_b32 v255, exec_lo, v2, vcc_lo :: v_dual_subrev_f32 v7, exec_lo, v3 ; encoding: [0x7e,0x60,0x24,0xcf,0x7e,0x00,0x02,0x6a,0xff,0x03,0x00,0x07]
// W64-ERR: :[[@LINE-2]]:1: error: instruction requires wavesize=32

v_dual_cndmask_b32 v255, m0, v2, vcc_lo :: v_dual_subrev_f32 v7, m0, v3
// GFX1250: v_dual_cndmask_b32 v255, m0, v2, vcc_lo :: v_dual_subrev_f32 v7, m0, v3 ; encoding: [0x7d,0x60,0x24,0xcf,0x7d,0x00,0x02,0x6a,0xff,0x03,0x00,0x07]
// W64-ERR: :[[@LINE-2]]:1: error: instruction requires wavesize=32

v_dual_cndmask_b32 v255, vcc_hi, v2, vcc_lo :: v_dual_subrev_f32 v7, vcc_hi, v3
// GFX1250: v_dual_cndmask_b32 v255, vcc_hi, v2, vcc_lo :: v_dual_subrev_f32 v7, vcc_hi, v3 ; encoding: [0x6b,0x60,0x24,0xcf,0x6b,0x00,0x02,0x6a,0xff,0x03,0x00,0x07]
// W64-ERR: :[[@LINE-2]]:1: error: instruction requires wavesize=32

v_dual_cndmask_b32 v255, vcc_lo, v2, vcc_lo :: v_dual_subrev_f32 v7, vcc_lo, v3
// GFX1250: v_dual_cndmask_b32 v255, vcc_lo, v2, vcc_lo :: v_dual_subrev_f32 v7, vcc_lo, v3 ; encoding: [0x6a,0x60,0x24,0xcf,0x6a,0x00,0x02,0x6a,0xff,0x03,0x00,0x07]
// W64-ERR: :[[@LINE-2]]:1: error: instruction requires wavesize=32

v_dual_cndmask_b32 v255, src_scc, v2, vcc_lo :: v_dual_subrev_f32 v7, -1, v3
// GFX1250: v_dual_cndmask_b32 v255, src_scc, v2, vcc_lo :: v_dual_subrev_f32 v7, -1, v3 ; encoding: [0xfd,0x60,0x24,0xcf,0xc1,0x00,0x02,0x6a,0xff,0x03,0x00,0x07]
// W64-ERR: :[[@LINE-2]]:1: error: instruction requires wavesize=32

v_dual_cndmask_b32 v255, 0.5, v3, vcc_lo :: v_dual_subrev_f32 v7, 0.5, v2
// GFX1250: v_dual_cndmask_b32 v255, 0.5, v3, vcc_lo :: v_dual_subrev_f32 v7, 0.5, v2 ; encoding: [0xf0,0x60,0x24,0xcf,0xf0,0x00,0x03,0x6a,0xff,0x02,0x00,0x07]
// W64-ERR: :[[@LINE-2]]:1: error: instruction requires wavesize=32

v_dual_cndmask_b32 v255, -1, v4, vcc_lo :: v_dual_subrev_f32 v7, src_scc, v5
// GFX1250: v_dual_cndmask_b32 v255, -1, v4, vcc_lo :: v_dual_subrev_f32 v7, src_scc, v5 ; encoding: [0xc1,0x60,0x24,0xcf,0xfd,0x00,0x04,0x6a,0xff,0x05,0x00,0x07]
// W64-ERR: :[[@LINE-2]]:1: error: instruction requires wavesize=32

v_dual_cndmask_b32 v255, v4, v2, vcc_lo :: v_dual_fma_f32 v7, v1, v3, v4
// GFX1250: v_dual_cndmask_b32 v255, v4, v2, vcc_lo :: v_dual_fma_f32 v7, v1, v3, v4 ; encoding: [0x04,0x31,0x25,0xcf,0x01,0x01,0x02,0x6a,0xff,0x03,0x04,0x07]
// W64-ERR: :[[@LINE-2]]:1: error: instruction requires wavesize=32

v_dual_cndmask_b32 v255, v4, v2, vcc_lo :: v_dual_bitop2_b32 v7, v1, v3 bitop3:1
// GFX1250: v_dual_cndmask_b32 v255, v4, v2, vcc_lo :: v_dual_bitop2_b32 v7, v1, v3 bitop3:1 ; encoding: [0x04,0x21,0x25,0xcf,0x01,0x01,0x02,0x6a,0xff,0x03,0x01,0x07]
// W64-ERR: :[[@LINE-2]]:1: error: instruction requires wavesize=32

v_dual_fmac_f32 v255, v4, v2 :: v_dual_add_f32 v7, v1, v3
// GFX1250: v_dual_fmac_f32 v255, v4, v2 :: v_dual_add_f32 v7, v1, v3 ; encoding: [0x04,0x41,0x00,0xcf,0x01,0x01,0x02,0x00,0xff,0x03,0x00,0x07]
// W64-ERR: :[[@LINE-2]]:1: error: instruction requires wavesize=32

v_dual_fmac_f32 v255, v1, v2 :: v_dual_add_f32 v7, v255, v3
// GFX1250: v_dual_fmac_f32 v255, v1, v2 :: v_dual_add_f32 v7, v255, v3 ; encoding: [0x01,0x41,0x00,0xcf,0xff,0x01,0x02,0x00,0xff,0x03,0x00,0x07]
	;; [unrolled: 4-line block ×7, first 2 shown]
// W64-ERR: :[[@LINE-2]]:1: error: instruction requires wavesize=32

v_dual_fmac_f32 v255, ttmp15, v2 :: v_dual_add_f32 v7, vcc_lo, v3
// GFX1250: v_dual_fmac_f32 v255, ttmp15, v2 :: v_dual_add_f32 v7, vcc_lo, v3 ; encoding: [0x7b,0x40,0x00,0xcf,0x6a,0x00,0x02,0x00,0xff,0x03,0x00,0x07]
// W64-ERR: :[[@LINE-2]]:1: error: instruction requires wavesize=32

v_dual_fmac_f32 v255, exec_hi, v2 :: v_dual_add_f32 v7, vcc_hi, v3
// GFX1250: v_dual_fmac_f32 v255, exec_hi, v2 :: v_dual_add_f32 v7, vcc_hi, v3 ; encoding: [0x7f,0x40,0x00,0xcf,0x6b,0x00,0x02,0x00,0xff,0x03,0x00,0x07]
// W64-ERR: :[[@LINE-2]]:1: error: instruction requires wavesize=32

v_dual_fmac_f32 v255, exec_lo, v2 :: v_dual_add_f32 v7, ttmp15, v3
// GFX1250: v_dual_fmac_f32 v255, exec_lo, v2 :: v_dual_add_f32 v7, ttmp15, v3 ; encoding: [0x7e,0x40,0x00,0xcf,0x7b,0x00,0x02,0x00,0xff,0x03,0x00,0x07]
// W64-ERR: :[[@LINE-2]]:1: error: instruction requires wavesize=32

v_dual_fmac_f32 v255, m0, v2 :: v_dual_add_f32 v7, m0, v3
// GFX1250: v_dual_fmac_f32 v255, m0, v2 :: v_dual_add_f32 v7, m0, v3 ; encoding: [0x7d,0x40,0x00,0xcf,0x7d,0x00,0x02,0x00,0xff,0x03,0x00,0x07]
// W64-ERR: :[[@LINE-2]]:1: error: instruction requires wavesize=32

v_dual_fmac_f32 v255, vcc_hi, v2 :: v_dual_add_f32 v7, exec_lo, v3
// GFX1250: v_dual_fmac_f32 v255, vcc_hi, v2 :: v_dual_add_f32 v7, exec_lo, v3 ; encoding: [0x6b,0x40,0x00,0xcf,0x7e,0x00,0x02,0x00,0xff,0x03,0x00,0x07]
// W64-ERR: :[[@LINE-2]]:1: error: instruction requires wavesize=32

v_dual_fmac_f32 v255, vcc_lo, v2 :: v_dual_add_f32 v7, exec_hi, v3
// GFX1250: v_dual_fmac_f32 v255, vcc_lo, v2 :: v_dual_add_f32 v7, exec_hi, v3 ; encoding: [0x6a,0x40,0x00,0xcf,0x7f,0x00,0x02,0x00,0xff,0x03,0x00,0x07]
// W64-ERR: :[[@LINE-2]]:1: error: instruction requires wavesize=32

v_dual_fmac_f32 v255, src_scc, v2 :: v_dual_add_f32 v7, -1, v3
// GFX1250: v_dual_fmac_f32 v255, src_scc, v2 :: v_dual_add_f32 v7, -1, v3 ; encoding: [0xfd,0x40,0x00,0xcf,0xc1,0x00,0x02,0x00,0xff,0x03,0x00,0x07]
// W64-ERR: :[[@LINE-2]]:1: error: instruction requires wavesize=32

v_dual_fmac_f32 v255, 0.5, v3 :: v_dual_add_f32 v7, 0.5, v2
// GFX1250: v_dual_fmac_f32 v255, 0.5, v3 :: v_dual_add_f32 v7, 0.5, v2 ; encoding: [0xf0,0x40,0x00,0xcf,0xf0,0x00,0x03,0x00,0xff,0x02,0x00,0x07]
// W64-ERR: :[[@LINE-2]]:1: error: instruction requires wavesize=32

v_dual_fmac_f32 v255, -1, v4 :: v_dual_add_f32 v7, src_scc, v5
// GFX1250: v_dual_fmac_f32 v255, -1, v4 :: v_dual_add_f32 v7, src_scc, v5 ; encoding: [0xc1,0x40,0x00,0xcf,0xfd,0x00,0x04,0x00,0xff,0x05,0x00,0x07]
// W64-ERR: :[[@LINE-2]]:1: error: instruction requires wavesize=32

v_dual_fmac_f32 v255, v4, v2 :: v_dual_add_nc_u32 v7, v1, v3
// GFX1250: v_dual_fmac_f32 v255, v4, v2 :: v_dual_add_nc_u32 v7, v1, v3 ; encoding: [0x04,0x01,0x01,0xcf,0x01,0x01,0x02,0x00,0xff,0x03,0x00,0x07]
// W64-ERR: :[[@LINE-2]]:1: error: instruction requires wavesize=32

v_dual_fmac_f32 v255, v1, v2 :: v_dual_add_nc_u32 v7, v255, v3
// GFX1250: v_dual_fmac_f32 v255, v1, v2 :: v_dual_add_nc_u32 v7, v255, v3 ; encoding: [0x01,0x01,0x01,0xcf,0xff,0x01,0x02,0x00,0xff,0x03,0x00,0x07]
	;; [unrolled: 4-line block ×7, first 2 shown]
// W64-ERR: :[[@LINE-2]]:1: error: instruction requires wavesize=32

v_dual_fmac_f32 v255, ttmp15, v2 :: v_dual_add_nc_u32 v7, vcc_lo, v3
// GFX1250: v_dual_fmac_f32 v255, ttmp15, v2 :: v_dual_add_nc_u32 v7, vcc_lo, v3 ; encoding: [0x7b,0x00,0x01,0xcf,0x6a,0x00,0x02,0x00,0xff,0x03,0x00,0x07]
// W64-ERR: :[[@LINE-2]]:1: error: instruction requires wavesize=32

v_dual_fmac_f32 v255, exec_hi, v2 :: v_dual_add_nc_u32 v7, vcc_hi, v3
// GFX1250: v_dual_fmac_f32 v255, exec_hi, v2 :: v_dual_add_nc_u32 v7, vcc_hi, v3 ; encoding: [0x7f,0x00,0x01,0xcf,0x6b,0x00,0x02,0x00,0xff,0x03,0x00,0x07]
// W64-ERR: :[[@LINE-2]]:1: error: instruction requires wavesize=32

v_dual_fmac_f32 v255, exec_lo, v2 :: v_dual_add_nc_u32 v7, ttmp15, v3
// GFX1250: v_dual_fmac_f32 v255, exec_lo, v2 :: v_dual_add_nc_u32 v7, ttmp15, v3 ; encoding: [0x7e,0x00,0x01,0xcf,0x7b,0x00,0x02,0x00,0xff,0x03,0x00,0x07]
// W64-ERR: :[[@LINE-2]]:1: error: instruction requires wavesize=32

v_dual_fmac_f32 v255, m0, v2 :: v_dual_add_nc_u32 v7, m0, v3
// GFX1250: v_dual_fmac_f32 v255, m0, v2 :: v_dual_add_nc_u32 v7, m0, v3 ; encoding: [0x7d,0x00,0x01,0xcf,0x7d,0x00,0x02,0x00,0xff,0x03,0x00,0x07]
// W64-ERR: :[[@LINE-2]]:1: error: instruction requires wavesize=32

v_dual_fmac_f32 v255, vcc_hi, v2 :: v_dual_add_nc_u32 v7, exec_lo, v3
// GFX1250: v_dual_fmac_f32 v255, vcc_hi, v2 :: v_dual_add_nc_u32 v7, exec_lo, v3 ; encoding: [0x6b,0x00,0x01,0xcf,0x7e,0x00,0x02,0x00,0xff,0x03,0x00,0x07]
// W64-ERR: :[[@LINE-2]]:1: error: instruction requires wavesize=32

v_dual_fmac_f32 v255, vcc_lo, v2 :: v_dual_add_nc_u32 v7, exec_hi, v3
// GFX1250: v_dual_fmac_f32 v255, vcc_lo, v2 :: v_dual_add_nc_u32 v7, exec_hi, v3 ; encoding: [0x6a,0x00,0x01,0xcf,0x7f,0x00,0x02,0x00,0xff,0x03,0x00,0x07]
// W64-ERR: :[[@LINE-2]]:1: error: instruction requires wavesize=32

v_dual_fmac_f32 v255, src_scc, v2 :: v_dual_add_nc_u32 v7, -1, v3
// GFX1250: v_dual_fmac_f32 v255, src_scc, v2 :: v_dual_add_nc_u32 v7, -1, v3 ; encoding: [0xfd,0x00,0x01,0xcf,0xc1,0x00,0x02,0x00,0xff,0x03,0x00,0x07]
// W64-ERR: :[[@LINE-2]]:1: error: instruction requires wavesize=32

v_dual_fmac_f32 v255, 0.5, v3 :: v_dual_add_nc_u32 v7, 0.5, v2
// GFX1250: v_dual_fmac_f32 v255, 0.5, v3 :: v_dual_add_nc_u32 v7, 0.5, v2 ; encoding: [0xf0,0x00,0x01,0xcf,0xf0,0x00,0x03,0x00,0xff,0x02,0x00,0x07]
// W64-ERR: :[[@LINE-2]]:1: error: instruction requires wavesize=32

v_dual_fmac_f32 v255, -1, v4 :: v_dual_add_nc_u32 v7, src_scc, v5
// GFX1250: v_dual_fmac_f32 v255, -1, v4 :: v_dual_add_nc_u32 v7, src_scc, v5 ; encoding: [0xc1,0x00,0x01,0xcf,0xfd,0x00,0x04,0x00,0xff,0x05,0x00,0x07]
// W64-ERR: :[[@LINE-2]]:1: error: instruction requires wavesize=32

v_dual_fmac_f32 v255, v4, v2 :: v_dual_cndmask_b32 v7, v1, v3, vcc_lo
// GFX1250: v_dual_fmac_f32 v255, v4, v2 :: v_dual_cndmask_b32 v7, v1, v3, vcc_lo ; encoding: [0x04,0x91,0x00,0xcf,0x01,0x01,0x02,0x00,0xff,0x03,0x6a,0x07]
// W64-ERR: :[[@LINE-2]]:1: error: instruction requires wavesize=32

v_dual_fmac_f32 v255, v1, v2 :: v_dual_cndmask_b32 v7, v255, v3, vcc_lo
// GFX1250: v_dual_fmac_f32 v255, v1, v2 :: v_dual_cndmask_b32 v7, v255, v3, vcc_lo ; encoding: [0x01,0x91,0x00,0xcf,0xff,0x01,0x02,0x00,0xff,0x03,0x6a,0x07]
	;; [unrolled: 4-line block ×7, first 2 shown]
// W64-ERR: :[[@LINE-2]]:1: error: instruction requires wavesize=32

v_dual_fmac_f32 v255, ttmp15, v2 :: v_dual_cndmask_b32 v7, ttmp15, v3, vcc_lo
// GFX1250: v_dual_fmac_f32 v255, ttmp15, v2 :: v_dual_cndmask_b32 v7, ttmp15, v3, vcc_lo ; encoding: [0x7b,0x90,0x00,0xcf,0x7b,0x00,0x02,0x00,0xff,0x03,0x6a,0x07]
// W64-ERR: :[[@LINE-2]]:1: error: instruction requires wavesize=32

v_dual_fmac_f32 v255, exec_hi, v2 :: v_dual_cndmask_b32 v7, exec_hi, v3, vcc_lo
// GFX1250: v_dual_fmac_f32 v255, exec_hi, v2 :: v_dual_cndmask_b32 v7, exec_hi, v3, vcc_lo ; encoding: [0x7f,0x90,0x00,0xcf,0x7f,0x00,0x02,0x00,0xff,0x03,0x6a,0x07]
// W64-ERR: :[[@LINE-2]]:1: error: instruction requires wavesize=32

v_dual_fmac_f32 v255, exec_lo, v2 :: v_dual_cndmask_b32 v7, exec_lo, v3, vcc_lo
// GFX1250: v_dual_fmac_f32 v255, exec_lo, v2 :: v_dual_cndmask_b32 v7, exec_lo, v3, vcc_lo ; encoding: [0x7e,0x90,0x00,0xcf,0x7e,0x00,0x02,0x00,0xff,0x03,0x6a,0x07]
// W64-ERR: :[[@LINE-2]]:1: error: instruction requires wavesize=32

v_dual_fmac_f32 v255, m0, v2 :: v_dual_cndmask_b32 v7, m0, v3, vcc_lo
// GFX1250: v_dual_fmac_f32 v255, m0, v2 :: v_dual_cndmask_b32 v7, m0, v3, vcc_lo ; encoding: [0x7d,0x90,0x00,0xcf,0x7d,0x00,0x02,0x00,0xff,0x03,0x6a,0x07]
// W64-ERR: :[[@LINE-2]]:1: error: instruction requires wavesize=32

v_dual_fmac_f32 v255, vcc_hi, v2 :: v_dual_cndmask_b32 v7, vcc_hi, v3, vcc_lo
// GFX1250: v_dual_fmac_f32 v255, vcc_hi, v2 :: v_dual_cndmask_b32 v7, vcc_hi, v3, vcc_lo ; encoding: [0x6b,0x90,0x00,0xcf,0x6b,0x00,0x02,0x00,0xff,0x03,0x6a,0x07]
// W64-ERR: :[[@LINE-2]]:1: error: instruction requires wavesize=32

v_dual_fmac_f32 v255, vcc_lo, v2 :: v_dual_cndmask_b32 v7, vcc_lo, v3, vcc_lo
// GFX1250: v_dual_fmac_f32 v255, vcc_lo, v2 :: v_dual_cndmask_b32 v7, vcc_lo, v3, vcc_lo ; encoding: [0x6a,0x90,0x00,0xcf,0x6a,0x00,0x02,0x00,0xff,0x03,0x6a,0x07]
// W64-ERR: :[[@LINE-2]]:1: error: instruction requires wavesize=32

v_dual_fmac_f32 v255, src_scc, v2 :: v_dual_cndmask_b32 v7, -1, v3, vcc_lo
// GFX1250: v_dual_fmac_f32 v255, src_scc, v2 :: v_dual_cndmask_b32 v7, -1, v3, vcc_lo ; encoding: [0xfd,0x90,0x00,0xcf,0xc1,0x00,0x02,0x00,0xff,0x03,0x6a,0x07]
// W64-ERR: :[[@LINE-2]]:1: error: instruction requires wavesize=32

v_dual_fmac_f32 v255, 0.5, v3 :: v_dual_cndmask_b32 v7, 0.5, v2, vcc_lo
// GFX1250: v_dual_fmac_f32 v255, 0.5, v3 :: v_dual_cndmask_b32 v7, 0.5, v2, vcc_lo ; encoding: [0xf0,0x90,0x00,0xcf,0xf0,0x00,0x03,0x00,0xff,0x02,0x6a,0x07]
// W64-ERR: :[[@LINE-2]]:1: error: instruction requires wavesize=32

v_dual_fmac_f32 v255, -1, v4 :: v_dual_cndmask_b32 v7, src_scc, v5, vcc_lo
// GFX1250: v_dual_fmac_f32 v255, -1, v4 :: v_dual_cndmask_b32 v7, src_scc, v5, vcc_lo ; encoding: [0xc1,0x90,0x00,0xcf,0xfd,0x00,0x04,0x00,0xff,0x05,0x6a,0x07]
// W64-ERR: :[[@LINE-2]]:1: error: instruction requires wavesize=32

v_dual_fmac_f32 v7, v4, v2 :: v_dual_fmac_f32 v9, v1, v3
// GFX1250: v_dual_fmac_f32 v7, v4, v2 :: v_dual_fmac_f32 v9, v1, v3 ; encoding: [0x04,0x01,0x00,0xcf,0x01,0x01,0x02,0x00,0x07,0x03,0x00,0x09]
// W64-ERR: :[[@LINE-2]]:1: error: instruction requires wavesize=32

v_dual_fmac_f32 v7, v1, v2 :: v_dual_fmac_f32 v9, v255, v3
// GFX1250: v_dual_fmac_f32 v7, v1, v2 :: v_dual_fmac_f32 v9, v255, v3 ; encoding: [0x01,0x01,0x00,0xcf,0xff,0x01,0x02,0x00,0x07,0x03,0x00,0x09]
	;; [unrolled: 4-line block ×7, first 2 shown]
// W64-ERR: :[[@LINE-2]]:1: error: instruction requires wavesize=32

v_dual_fmac_f32 v7, ttmp15, v2 :: v_dual_fmac_f32 v9, vcc_lo, v3
// GFX1250: v_dual_fmac_f32 v7, ttmp15, v2 :: v_dual_fmac_f32 v9, vcc_lo, v3 ; encoding: [0x7b,0x00,0x00,0xcf,0x6a,0x00,0x02,0x00,0x07,0x03,0x00,0x09]
// W64-ERR: :[[@LINE-2]]:1: error: instruction requires wavesize=32

v_dual_fmac_f32 v7, exec_hi, v2 :: v_dual_fmac_f32 v9, vcc_hi, v3
// GFX1250: v_dual_fmac_f32 v7, exec_hi, v2 :: v_dual_fmac_f32 v9, vcc_hi, v3 ; encoding: [0x7f,0x00,0x00,0xcf,0x6b,0x00,0x02,0x00,0x07,0x03,0x00,0x09]
// W64-ERR: :[[@LINE-2]]:1: error: instruction requires wavesize=32

v_dual_fmac_f32 v7, exec_lo, v2 :: v_dual_fmac_f32 v9, ttmp15, v3
// GFX1250: v_dual_fmac_f32 v7, exec_lo, v2 :: v_dual_fmac_f32 v9, ttmp15, v3 ; encoding: [0x7e,0x00,0x00,0xcf,0x7b,0x00,0x02,0x00,0x07,0x03,0x00,0x09]
// W64-ERR: :[[@LINE-2]]:1: error: instruction requires wavesize=32

v_dual_fmac_f32 v7, m0, v2 :: v_dual_fmac_f32 v9, m0, v3
// GFX1250: v_dual_fmac_f32 v7, m0, v2 :: v_dual_fmac_f32 v9, m0, v3 ; encoding: [0x7d,0x00,0x00,0xcf,0x7d,0x00,0x02,0x00,0x07,0x03,0x00,0x09]
// W64-ERR: :[[@LINE-2]]:1: error: instruction requires wavesize=32

v_dual_fmac_f32 v7, vcc_hi, v2 :: v_dual_fmac_f32 v9, exec_lo, v3
// GFX1250: v_dual_fmac_f32 v7, vcc_hi, v2 :: v_dual_fmac_f32 v9, exec_lo, v3 ; encoding: [0x6b,0x00,0x00,0xcf,0x7e,0x00,0x02,0x00,0x07,0x03,0x00,0x09]
// W64-ERR: :[[@LINE-2]]:1: error: instruction requires wavesize=32

v_dual_fmac_f32 v7, vcc_lo, v2 :: v_dual_fmac_f32 v9, exec_hi, v3
// GFX1250: v_dual_fmac_f32 v7, vcc_lo, v2 :: v_dual_fmac_f32 v9, exec_hi, v3 ; encoding: [0x6a,0x00,0x00,0xcf,0x7f,0x00,0x02,0x00,0x07,0x03,0x00,0x09]
// W64-ERR: :[[@LINE-2]]:1: error: instruction requires wavesize=32

v_dual_fmac_f32 v7, src_scc, v2 :: v_dual_fmac_f32 v9, -1, v3
// GFX1250: v_dual_fmac_f32 v7, src_scc, v2 :: v_dual_fmac_f32 v9, -1, v3 ; encoding: [0xfd,0x00,0x00,0xcf,0xc1,0x00,0x02,0x00,0x07,0x03,0x00,0x09]
// W64-ERR: :[[@LINE-2]]:1: error: instruction requires wavesize=32

v_dual_fmac_f32 v7, 0.5, v3 :: v_dual_fmac_f32 v9, 0.5, v2
// GFX1250: v_dual_fmac_f32 v7, 0.5, v3 :: v_dual_fmac_f32 v9, 0.5, v2 ; encoding: [0xf0,0x00,0x00,0xcf,0xf0,0x00,0x03,0x00,0x07,0x02,0x00,0x09]
// W64-ERR: :[[@LINE-2]]:1: error: instruction requires wavesize=32

v_dual_fmac_f32 v7, -1, v4 :: v_dual_fmac_f32 v9, src_scc, v5
// GFX1250: v_dual_fmac_f32 v7, -1, v4 :: v_dual_fmac_f32 v9, src_scc, v5 ; encoding: [0xc1,0x00,0x00,0xcf,0xfd,0x00,0x04,0x00,0x07,0x05,0x00,0x09]
// W64-ERR: :[[@LINE-2]]:1: error: instruction requires wavesize=32

v_dual_fmac_f32 v255, v4, v2 :: v_dual_lshlrev_b32 v7, v1, v3
// GFX1250: v_dual_fmac_f32 v255, v4, v2 :: v_dual_lshlrev_b32 v7, v1, v3 ; encoding: [0x04,0x11,0x01,0xcf,0x01,0x01,0x02,0x00,0xff,0x03,0x00,0x07]
// W64-ERR: :[[@LINE-2]]:1: error: instruction requires wavesize=32

v_dual_fmac_f32 v255, v1, v2 :: v_dual_lshlrev_b32 v7, v255, v3
// GFX1250: v_dual_fmac_f32 v255, v1, v2 :: v_dual_lshlrev_b32 v7, v255, v3 ; encoding: [0x01,0x11,0x01,0xcf,0xff,0x01,0x02,0x00,0xff,0x03,0x00,0x07]
	;; [unrolled: 4-line block ×7, first 2 shown]
// W64-ERR: :[[@LINE-2]]:1: error: instruction requires wavesize=32

v_dual_fmac_f32 v255, ttmp15, v2 :: v_dual_lshlrev_b32 v7, vcc_lo, v3
// GFX1250: v_dual_fmac_f32 v255, ttmp15, v2 :: v_dual_lshlrev_b32 v7, vcc_lo, v3 ; encoding: [0x7b,0x10,0x01,0xcf,0x6a,0x00,0x02,0x00,0xff,0x03,0x00,0x07]
// W64-ERR: :[[@LINE-2]]:1: error: instruction requires wavesize=32

v_dual_fmac_f32 v255, exec_hi, v2 :: v_dual_lshlrev_b32 v7, vcc_hi, v3
// GFX1250: v_dual_fmac_f32 v255, exec_hi, v2 :: v_dual_lshlrev_b32 v7, vcc_hi, v3 ; encoding: [0x7f,0x10,0x01,0xcf,0x6b,0x00,0x02,0x00,0xff,0x03,0x00,0x07]
// W64-ERR: :[[@LINE-2]]:1: error: instruction requires wavesize=32

v_dual_fmac_f32 v255, exec_lo, v2 :: v_dual_lshlrev_b32 v7, ttmp15, v3
// GFX1250: v_dual_fmac_f32 v255, exec_lo, v2 :: v_dual_lshlrev_b32 v7, ttmp15, v3 ; encoding: [0x7e,0x10,0x01,0xcf,0x7b,0x00,0x02,0x00,0xff,0x03,0x00,0x07]
// W64-ERR: :[[@LINE-2]]:1: error: instruction requires wavesize=32

v_dual_fmac_f32 v255, m0, v2 :: v_dual_lshlrev_b32 v7, m0, v3
// GFX1250: v_dual_fmac_f32 v255, m0, v2 :: v_dual_lshlrev_b32 v7, m0, v3 ; encoding: [0x7d,0x10,0x01,0xcf,0x7d,0x00,0x02,0x00,0xff,0x03,0x00,0x07]
// W64-ERR: :[[@LINE-2]]:1: error: instruction requires wavesize=32

v_dual_fmac_f32 v255, vcc_hi, v2 :: v_dual_lshlrev_b32 v7, exec_lo, v3
// GFX1250: v_dual_fmac_f32 v255, vcc_hi, v2 :: v_dual_lshlrev_b32 v7, exec_lo, v3 ; encoding: [0x6b,0x10,0x01,0xcf,0x7e,0x00,0x02,0x00,0xff,0x03,0x00,0x07]
// W64-ERR: :[[@LINE-2]]:1: error: instruction requires wavesize=32

v_dual_fmac_f32 v255, vcc_lo, v2 :: v_dual_lshlrev_b32 v7, exec_hi, v3
// GFX1250: v_dual_fmac_f32 v255, vcc_lo, v2 :: v_dual_lshlrev_b32 v7, exec_hi, v3 ; encoding: [0x6a,0x10,0x01,0xcf,0x7f,0x00,0x02,0x00,0xff,0x03,0x00,0x07]
// W64-ERR: :[[@LINE-2]]:1: error: instruction requires wavesize=32

v_dual_fmac_f32 v255, src_scc, v2 :: v_dual_lshlrev_b32 v7, -1, v3
// GFX1250: v_dual_fmac_f32 v255, src_scc, v2 :: v_dual_lshlrev_b32 v7, -1, v3 ; encoding: [0xfd,0x10,0x01,0xcf,0xc1,0x00,0x02,0x00,0xff,0x03,0x00,0x07]
// W64-ERR: :[[@LINE-2]]:1: error: instruction requires wavesize=32

v_dual_fmac_f32 v255, 0.5, v3 :: v_dual_lshlrev_b32 v7, 0.5, v2
// GFX1250: v_dual_fmac_f32 v255, 0.5, v3 :: v_dual_lshlrev_b32 v7, 0.5, v2 ; encoding: [0xf0,0x10,0x01,0xcf,0xf0,0x00,0x03,0x00,0xff,0x02,0x00,0x07]
// W64-ERR: :[[@LINE-2]]:1: error: instruction requires wavesize=32

v_dual_fmac_f32 v255, -1, v4 :: v_dual_lshlrev_b32 v7, src_scc, v5
// GFX1250: v_dual_fmac_f32 v255, -1, v4 :: v_dual_lshlrev_b32 v7, src_scc, v5 ; encoding: [0xc1,0x10,0x01,0xcf,0xfd,0x00,0x04,0x00,0xff,0x05,0x00,0x07]
// W64-ERR: :[[@LINE-2]]:1: error: instruction requires wavesize=32

v_dual_fmac_f32 v255, v4, v2 :: v_dual_max_num_f32 v7, v1, v3
// GFX1250: v_dual_fmac_f32 v255, v4, v2 :: v_dual_max_num_f32 v7, v1, v3 ; encoding: [0x04,0xa1,0x00,0xcf,0x01,0x01,0x02,0x00,0xff,0x03,0x00,0x07]
// W64-ERR: :[[@LINE-2]]:1: error: instruction requires wavesize=32

v_dual_fmac_f32 v255, v1, v2 :: v_dual_max_num_f32 v7, v255, v3
// GFX1250: v_dual_fmac_f32 v255, v1, v2 :: v_dual_max_num_f32 v7, v255, v3 ; encoding: [0x01,0xa1,0x00,0xcf,0xff,0x01,0x02,0x00,0xff,0x03,0x00,0x07]
	;; [unrolled: 4-line block ×7, first 2 shown]
// W64-ERR: :[[@LINE-2]]:1: error: instruction requires wavesize=32

v_dual_fmac_f32 v255, ttmp15, v2 :: v_dual_max_num_f32 v7, vcc_lo, v3
// GFX1250: v_dual_fmac_f32 v255, ttmp15, v2 :: v_dual_max_num_f32 v7, vcc_lo, v3 ; encoding: [0x7b,0xa0,0x00,0xcf,0x6a,0x00,0x02,0x00,0xff,0x03,0x00,0x07]
// W64-ERR: :[[@LINE-2]]:1: error: instruction requires wavesize=32

v_dual_fmac_f32 v255, exec_hi, v2 :: v_dual_max_num_f32 v7, vcc_hi, v3
// GFX1250: v_dual_fmac_f32 v255, exec_hi, v2 :: v_dual_max_num_f32 v7, vcc_hi, v3 ; encoding: [0x7f,0xa0,0x00,0xcf,0x6b,0x00,0x02,0x00,0xff,0x03,0x00,0x07]
// W64-ERR: :[[@LINE-2]]:1: error: instruction requires wavesize=32

v_dual_fmac_f32 v255, exec_lo, v2 :: v_dual_max_num_f32 v7, ttmp15, v3
// GFX1250: v_dual_fmac_f32 v255, exec_lo, v2 :: v_dual_max_num_f32 v7, ttmp15, v3 ; encoding: [0x7e,0xa0,0x00,0xcf,0x7b,0x00,0x02,0x00,0xff,0x03,0x00,0x07]
// W64-ERR: :[[@LINE-2]]:1: error: instruction requires wavesize=32

v_dual_fmac_f32 v255, m0, v2 :: v_dual_max_num_f32 v7, m0, v3
// GFX1250: v_dual_fmac_f32 v255, m0, v2 :: v_dual_max_num_f32 v7, m0, v3 ; encoding: [0x7d,0xa0,0x00,0xcf,0x7d,0x00,0x02,0x00,0xff,0x03,0x00,0x07]
// W64-ERR: :[[@LINE-2]]:1: error: instruction requires wavesize=32

v_dual_fmac_f32 v255, vcc_hi, v2 :: v_dual_max_num_f32 v7, exec_lo, v3
// GFX1250: v_dual_fmac_f32 v255, vcc_hi, v2 :: v_dual_max_num_f32 v7, exec_lo, v3 ; encoding: [0x6b,0xa0,0x00,0xcf,0x7e,0x00,0x02,0x00,0xff,0x03,0x00,0x07]
// W64-ERR: :[[@LINE-2]]:1: error: instruction requires wavesize=32

v_dual_fmac_f32 v255, vcc_lo, v2 :: v_dual_max_num_f32 v7, exec_hi, v3
// GFX1250: v_dual_fmac_f32 v255, vcc_lo, v2 :: v_dual_max_num_f32 v7, exec_hi, v3 ; encoding: [0x6a,0xa0,0x00,0xcf,0x7f,0x00,0x02,0x00,0xff,0x03,0x00,0x07]
// W64-ERR: :[[@LINE-2]]:1: error: instruction requires wavesize=32

v_dual_fmac_f32 v255, src_scc, v2 :: v_dual_max_num_f32 v7, -1, v3
// GFX1250: v_dual_fmac_f32 v255, src_scc, v2 :: v_dual_max_num_f32 v7, -1, v3 ; encoding: [0xfd,0xa0,0x00,0xcf,0xc1,0x00,0x02,0x00,0xff,0x03,0x00,0x07]
// W64-ERR: :[[@LINE-2]]:1: error: instruction requires wavesize=32

v_dual_fmac_f32 v255, 0.5, v3 :: v_dual_max_num_f32 v7, 0.5, v2
// GFX1250: v_dual_fmac_f32 v255, 0.5, v3 :: v_dual_max_num_f32 v7, 0.5, v2 ; encoding: [0xf0,0xa0,0x00,0xcf,0xf0,0x00,0x03,0x00,0xff,0x02,0x00,0x07]
// W64-ERR: :[[@LINE-2]]:1: error: instruction requires wavesize=32

v_dual_fmac_f32 v255, -1, v4 :: v_dual_max_num_f32 v7, src_scc, v5
// GFX1250: v_dual_fmac_f32 v255, -1, v4 :: v_dual_max_num_f32 v7, src_scc, v5 ; encoding: [0xc1,0xa0,0x00,0xcf,0xfd,0x00,0x04,0x00,0xff,0x05,0x00,0x07]
// W64-ERR: :[[@LINE-2]]:1: error: instruction requires wavesize=32

v_dual_fmac_f32 v255, v4, v2 :: v_dual_min_num_f32 v7, v1, v3
// GFX1250: v_dual_fmac_f32 v255, v4, v2 :: v_dual_min_num_f32 v7, v1, v3 ; encoding: [0x04,0xb1,0x00,0xcf,0x01,0x01,0x02,0x00,0xff,0x03,0x00,0x07]
// W64-ERR: :[[@LINE-2]]:1: error: instruction requires wavesize=32

v_dual_fmac_f32 v255, v1, v2 :: v_dual_min_num_f32 v7, v255, v3
// GFX1250: v_dual_fmac_f32 v255, v1, v2 :: v_dual_min_num_f32 v7, v255, v3 ; encoding: [0x01,0xb1,0x00,0xcf,0xff,0x01,0x02,0x00,0xff,0x03,0x00,0x07]
	;; [unrolled: 4-line block ×7, first 2 shown]
// W64-ERR: :[[@LINE-2]]:1: error: instruction requires wavesize=32

v_dual_fmac_f32 v255, ttmp15, v2 :: v_dual_min_num_f32 v7, vcc_lo, v3
// GFX1250: v_dual_fmac_f32 v255, ttmp15, v2 :: v_dual_min_num_f32 v7, vcc_lo, v3 ; encoding: [0x7b,0xb0,0x00,0xcf,0x6a,0x00,0x02,0x00,0xff,0x03,0x00,0x07]
// W64-ERR: :[[@LINE-2]]:1: error: instruction requires wavesize=32

v_dual_fmac_f32 v255, exec_hi, v2 :: v_dual_min_num_f32 v7, vcc_hi, v3
// GFX1250: v_dual_fmac_f32 v255, exec_hi, v2 :: v_dual_min_num_f32 v7, vcc_hi, v3 ; encoding: [0x7f,0xb0,0x00,0xcf,0x6b,0x00,0x02,0x00,0xff,0x03,0x00,0x07]
// W64-ERR: :[[@LINE-2]]:1: error: instruction requires wavesize=32

v_dual_fmac_f32 v255, exec_lo, v2 :: v_dual_min_num_f32 v7, ttmp15, v3
// GFX1250: v_dual_fmac_f32 v255, exec_lo, v2 :: v_dual_min_num_f32 v7, ttmp15, v3 ; encoding: [0x7e,0xb0,0x00,0xcf,0x7b,0x00,0x02,0x00,0xff,0x03,0x00,0x07]
// W64-ERR: :[[@LINE-2]]:1: error: instruction requires wavesize=32

v_dual_fmac_f32 v255, m0, v2 :: v_dual_min_num_f32 v7, m0, v3
// GFX1250: v_dual_fmac_f32 v255, m0, v2 :: v_dual_min_num_f32 v7, m0, v3 ; encoding: [0x7d,0xb0,0x00,0xcf,0x7d,0x00,0x02,0x00,0xff,0x03,0x00,0x07]
// W64-ERR: :[[@LINE-2]]:1: error: instruction requires wavesize=32

v_dual_fmac_f32 v255, vcc_hi, v2 :: v_dual_min_num_f32 v7, exec_lo, v3
// GFX1250: v_dual_fmac_f32 v255, vcc_hi, v2 :: v_dual_min_num_f32 v7, exec_lo, v3 ; encoding: [0x6b,0xb0,0x00,0xcf,0x7e,0x00,0x02,0x00,0xff,0x03,0x00,0x07]
// W64-ERR: :[[@LINE-2]]:1: error: instruction requires wavesize=32

v_dual_fmac_f32 v255, vcc_lo, v2 :: v_dual_min_num_f32 v7, exec_hi, v3
// GFX1250: v_dual_fmac_f32 v255, vcc_lo, v2 :: v_dual_min_num_f32 v7, exec_hi, v3 ; encoding: [0x6a,0xb0,0x00,0xcf,0x7f,0x00,0x02,0x00,0xff,0x03,0x00,0x07]
// W64-ERR: :[[@LINE-2]]:1: error: instruction requires wavesize=32

v_dual_fmac_f32 v255, src_scc, v2 :: v_dual_min_num_f32 v7, -1, v3
// GFX1250: v_dual_fmac_f32 v255, src_scc, v2 :: v_dual_min_num_f32 v7, -1, v3 ; encoding: [0xfd,0xb0,0x00,0xcf,0xc1,0x00,0x02,0x00,0xff,0x03,0x00,0x07]
// W64-ERR: :[[@LINE-2]]:1: error: instruction requires wavesize=32

v_dual_fmac_f32 v255, 0.5, v3 :: v_dual_min_num_f32 v7, 0.5, v2
// GFX1250: v_dual_fmac_f32 v255, 0.5, v3 :: v_dual_min_num_f32 v7, 0.5, v2 ; encoding: [0xf0,0xb0,0x00,0xcf,0xf0,0x00,0x03,0x00,0xff,0x02,0x00,0x07]
// W64-ERR: :[[@LINE-2]]:1: error: instruction requires wavesize=32

v_dual_fmac_f32 v255, -1, v4 :: v_dual_min_num_f32 v7, src_scc, v5
// GFX1250: v_dual_fmac_f32 v255, -1, v4 :: v_dual_min_num_f32 v7, src_scc, v5 ; encoding: [0xc1,0xb0,0x00,0xcf,0xfd,0x00,0x04,0x00,0xff,0x05,0x00,0x07]
// W64-ERR: :[[@LINE-2]]:1: error: instruction requires wavesize=32

v_dual_fmac_f32 v255, v4, v255 :: v_dual_mov_b32 v7, v1
// GFX1250: v_dual_fmac_f32 v255, v4, v255 :: v_dual_mov_b32 v7, v1 ; encoding: [0x04,0x81,0x00,0xcf,0x01,0x01,0xff,0x00,0xff,0x00,0x00,0x07]
// W64-ERR: :[[@LINE-2]]:1: error: instruction requires wavesize=32

v_dual_fmac_f32 v255, v1, v255 :: v_dual_mov_b32 v7, v255
// GFX1250: v_dual_fmac_f32 v255, v1, v255 :: v_dual_mov_b32 v7, v255 ; encoding: [0x01,0x81,0x00,0xcf,0xff,0x01,0xff,0x00,0xff,0x00,0x00,0x07]
	;; [unrolled: 4-line block ×7, first 2 shown]
// W64-ERR: :[[@LINE-2]]:1: error: instruction requires wavesize=32

v_dual_fmac_f32 v255, ttmp15, v255 :: v_dual_mov_b32 v7, vcc_lo
// GFX1250: v_dual_fmac_f32 v255, ttmp15, v255 :: v_dual_mov_b32 v7, vcc_lo ; encoding: [0x7b,0x80,0x00,0xcf,0x6a,0x00,0xff,0x00,0xff,0x00,0x00,0x07]
// W64-ERR: :[[@LINE-2]]:1: error: instruction requires wavesize=32

v_dual_fmac_f32 v255, exec_hi, v255 :: v_dual_mov_b32 v7, vcc_hi
// GFX1250: v_dual_fmac_f32 v255, exec_hi, v255 :: v_dual_mov_b32 v7, vcc_hi ; encoding: [0x7f,0x80,0x00,0xcf,0x6b,0x00,0xff,0x00,0xff,0x00,0x00,0x07]
// W64-ERR: :[[@LINE-2]]:1: error: instruction requires wavesize=32

v_dual_fmac_f32 v255, exec_lo, v255 :: v_dual_mov_b32 v7, ttmp15
// GFX1250: v_dual_fmac_f32 v255, exec_lo, v255 :: v_dual_mov_b32 v7, ttmp15 ; encoding: [0x7e,0x80,0x00,0xcf,0x7b,0x00,0xff,0x00,0xff,0x00,0x00,0x07]
// W64-ERR: :[[@LINE-2]]:1: error: instruction requires wavesize=32

v_dual_fmac_f32 v255, m0, v255 :: v_dual_mov_b32 v7, m0
// GFX1250: v_dual_fmac_f32 v255, m0, v255 :: v_dual_mov_b32 v7, m0 ; encoding: [0x7d,0x80,0x00,0xcf,0x7d,0x00,0xff,0x00,0xff,0x00,0x00,0x07]
// W64-ERR: :[[@LINE-2]]:1: error: instruction requires wavesize=32

v_dual_fmac_f32 v255, vcc_hi, v255 :: v_dual_mov_b32 v7, exec_lo
// GFX1250: v_dual_fmac_f32 v255, vcc_hi, v255 :: v_dual_mov_b32 v7, exec_lo ; encoding: [0x6b,0x80,0x00,0xcf,0x7e,0x00,0xff,0x00,0xff,0x00,0x00,0x07]
// W64-ERR: :[[@LINE-2]]:1: error: instruction requires wavesize=32

v_dual_fmac_f32 v255, vcc_lo, v255 :: v_dual_mov_b32 v7, exec_hi
// GFX1250: v_dual_fmac_f32 v255, vcc_lo, v255 :: v_dual_mov_b32 v7, exec_hi ; encoding: [0x6a,0x80,0x00,0xcf,0x7f,0x00,0xff,0x00,0xff,0x00,0x00,0x07]
// W64-ERR: :[[@LINE-2]]:1: error: instruction requires wavesize=32

v_dual_fmac_f32 v255, src_scc, v255 :: v_dual_mov_b32 v7, -1
// GFX1250: v_dual_fmac_f32 v255, src_scc, v255 :: v_dual_mov_b32 v7, -1 ; encoding: [0xfd,0x80,0x00,0xcf,0xc1,0x00,0xff,0x00,0xff,0x00,0x00,0x07]
// W64-ERR: :[[@LINE-2]]:1: error: instruction requires wavesize=32

v_dual_fmac_f32 v255, 0.5, v3 :: v_dual_mov_b32 v7, 0.5
// GFX1250: v_dual_fmac_f32 v255, 0.5, v3 :: v_dual_mov_b32 v7, 0.5 ; encoding: [0xf0,0x80,0x00,0xcf,0xf0,0x00,0x03,0x00,0xff,0x00,0x00,0x07]
// W64-ERR: :[[@LINE-2]]:1: error: instruction requires wavesize=32

v_dual_fmac_f32 v255, -1, v4 :: v_dual_mov_b32 v7, src_scc
// GFX1250: v_dual_fmac_f32 v255, -1, v4 :: v_dual_mov_b32 v7, src_scc ; encoding: [0xc1,0x80,0x00,0xcf,0xfd,0x00,0x04,0x00,0xff,0x00,0x00,0x07]
// W64-ERR: :[[@LINE-2]]:1: error: instruction requires wavesize=32

v_dual_fmac_f32 v255, v4, v2 :: v_dual_mul_dx9_zero_f32 v7, v1, v3
// GFX1250: v_dual_fmac_f32 v255, v4, v2 :: v_dual_mul_dx9_zero_f32 v7, v1, v3 ; encoding: [0x04,0x71,0x00,0xcf,0x01,0x01,0x02,0x00,0xff,0x03,0x00,0x07]
// W64-ERR: :[[@LINE-2]]:1: error: instruction requires wavesize=32

v_dual_fmac_f32 v255, v1, v2 :: v_dual_mul_dx9_zero_f32 v7, v255, v3
// GFX1250: v_dual_fmac_f32 v255, v1, v2 :: v_dual_mul_dx9_zero_f32 v7, v255, v3 ; encoding: [0x01,0x71,0x00,0xcf,0xff,0x01,0x02,0x00,0xff,0x03,0x00,0x07]
	;; [unrolled: 4-line block ×7, first 2 shown]
// W64-ERR: :[[@LINE-2]]:1: error: instruction requires wavesize=32

v_dual_fmac_f32 v255, ttmp15, v2 :: v_dual_mul_dx9_zero_f32 v7, vcc_lo, v3
// GFX1250: v_dual_fmac_f32 v255, ttmp15, v2 :: v_dual_mul_dx9_zero_f32 v7, vcc_lo, v3 ; encoding: [0x7b,0x70,0x00,0xcf,0x6a,0x00,0x02,0x00,0xff,0x03,0x00,0x07]
// W64-ERR: :[[@LINE-2]]:1: error: instruction requires wavesize=32

v_dual_fmac_f32 v255, exec_hi, v2 :: v_dual_mul_dx9_zero_f32 v7, vcc_hi, v3
// GFX1250: v_dual_fmac_f32 v255, exec_hi, v2 :: v_dual_mul_dx9_zero_f32 v7, vcc_hi, v3 ; encoding: [0x7f,0x70,0x00,0xcf,0x6b,0x00,0x02,0x00,0xff,0x03,0x00,0x07]
// W64-ERR: :[[@LINE-2]]:1: error: instruction requires wavesize=32

v_dual_fmac_f32 v255, exec_lo, v2 :: v_dual_mul_dx9_zero_f32 v7, ttmp15, v3
// GFX1250: v_dual_fmac_f32 v255, exec_lo, v2 :: v_dual_mul_dx9_zero_f32 v7, ttmp15, v3 ; encoding: [0x7e,0x70,0x00,0xcf,0x7b,0x00,0x02,0x00,0xff,0x03,0x00,0x07]
// W64-ERR: :[[@LINE-2]]:1: error: instruction requires wavesize=32

v_dual_fmac_f32 v255, m0, v2 :: v_dual_mul_dx9_zero_f32 v7, m0, v3
// GFX1250: v_dual_fmac_f32 v255, m0, v2 :: v_dual_mul_dx9_zero_f32 v7, m0, v3 ; encoding: [0x7d,0x70,0x00,0xcf,0x7d,0x00,0x02,0x00,0xff,0x03,0x00,0x07]
// W64-ERR: :[[@LINE-2]]:1: error: instruction requires wavesize=32

v_dual_fmac_f32 v255, vcc_hi, v2 :: v_dual_mul_dx9_zero_f32 v7, exec_lo, v3
// GFX1250: v_dual_fmac_f32 v255, vcc_hi, v2 :: v_dual_mul_dx9_zero_f32 v7, exec_lo, v3 ; encoding: [0x6b,0x70,0x00,0xcf,0x7e,0x00,0x02,0x00,0xff,0x03,0x00,0x07]
// W64-ERR: :[[@LINE-2]]:1: error: instruction requires wavesize=32

v_dual_fmac_f32 v255, vcc_lo, v2 :: v_dual_mul_dx9_zero_f32 v7, exec_hi, v3
// GFX1250: v_dual_fmac_f32 v255, vcc_lo, v2 :: v_dual_mul_dx9_zero_f32 v7, exec_hi, v3 ; encoding: [0x6a,0x70,0x00,0xcf,0x7f,0x00,0x02,0x00,0xff,0x03,0x00,0x07]
// W64-ERR: :[[@LINE-2]]:1: error: instruction requires wavesize=32

v_dual_fmac_f32 v255, src_scc, v2 :: v_dual_mul_dx9_zero_f32 v7, -1, v3
// GFX1250: v_dual_fmac_f32 v255, src_scc, v2 :: v_dual_mul_dx9_zero_f32 v7, -1, v3 ; encoding: [0xfd,0x70,0x00,0xcf,0xc1,0x00,0x02,0x00,0xff,0x03,0x00,0x07]
// W64-ERR: :[[@LINE-2]]:1: error: instruction requires wavesize=32

v_dual_fmac_f32 v255, 0.5, v3 :: v_dual_mul_dx9_zero_f32 v7, 0.5, v2
// GFX1250: v_dual_fmac_f32 v255, 0.5, v3 :: v_dual_mul_dx9_zero_f32 v7, 0.5, v2 ; encoding: [0xf0,0x70,0x00,0xcf,0xf0,0x00,0x03,0x00,0xff,0x02,0x00,0x07]
// W64-ERR: :[[@LINE-2]]:1: error: instruction requires wavesize=32

v_dual_fmac_f32 v255, -1, v4 :: v_dual_mul_dx9_zero_f32 v7, src_scc, v5
// GFX1250: v_dual_fmac_f32 v255, -1, v4 :: v_dual_mul_dx9_zero_f32 v7, src_scc, v5 ; encoding: [0xc1,0x70,0x00,0xcf,0xfd,0x00,0x04,0x00,0xff,0x05,0x00,0x07]
// W64-ERR: :[[@LINE-2]]:1: error: instruction requires wavesize=32

v_dual_fmac_f32 v255, v4, v2 :: v_dual_mul_f32 v7, v1, v3
// GFX1250: v_dual_fmac_f32 v255, v4, v2 :: v_dual_mul_f32 v7, v1, v3 ; encoding: [0x04,0x31,0x00,0xcf,0x01,0x01,0x02,0x00,0xff,0x03,0x00,0x07]
// W64-ERR: :[[@LINE-2]]:1: error: instruction requires wavesize=32

v_dual_fmac_f32 v255, v1, v2 :: v_dual_mul_f32 v7, v255, v3
// GFX1250: v_dual_fmac_f32 v255, v1, v2 :: v_dual_mul_f32 v7, v255, v3 ; encoding: [0x01,0x31,0x00,0xcf,0xff,0x01,0x02,0x00,0xff,0x03,0x00,0x07]
	;; [unrolled: 4-line block ×7, first 2 shown]
// W64-ERR: :[[@LINE-2]]:1: error: instruction requires wavesize=32

v_dual_fmac_f32 v255, ttmp15, v2 :: v_dual_mul_f32 v7, vcc_lo, v3
// GFX1250: v_dual_fmac_f32 v255, ttmp15, v2 :: v_dual_mul_f32 v7, vcc_lo, v3 ; encoding: [0x7b,0x30,0x00,0xcf,0x6a,0x00,0x02,0x00,0xff,0x03,0x00,0x07]
// W64-ERR: :[[@LINE-2]]:1: error: instruction requires wavesize=32

v_dual_fmac_f32 v255, exec_hi, v2 :: v_dual_mul_f32 v7, vcc_hi, v3
// GFX1250: v_dual_fmac_f32 v255, exec_hi, v2 :: v_dual_mul_f32 v7, vcc_hi, v3 ; encoding: [0x7f,0x30,0x00,0xcf,0x6b,0x00,0x02,0x00,0xff,0x03,0x00,0x07]
// W64-ERR: :[[@LINE-2]]:1: error: instruction requires wavesize=32

v_dual_fmac_f32 v255, exec_lo, v2 :: v_dual_mul_f32 v7, ttmp15, v3
// GFX1250: v_dual_fmac_f32 v255, exec_lo, v2 :: v_dual_mul_f32 v7, ttmp15, v3 ; encoding: [0x7e,0x30,0x00,0xcf,0x7b,0x00,0x02,0x00,0xff,0x03,0x00,0x07]
// W64-ERR: :[[@LINE-2]]:1: error: instruction requires wavesize=32

v_dual_fmac_f32 v255, m0, v2 :: v_dual_mul_f32 v7, m0, v3
// GFX1250: v_dual_fmac_f32 v255, m0, v2 :: v_dual_mul_f32 v7, m0, v3 ; encoding: [0x7d,0x30,0x00,0xcf,0x7d,0x00,0x02,0x00,0xff,0x03,0x00,0x07]
// W64-ERR: :[[@LINE-2]]:1: error: instruction requires wavesize=32

v_dual_fmac_f32 v255, vcc_hi, v2 :: v_dual_mul_f32 v7, exec_lo, v3
// GFX1250: v_dual_fmac_f32 v255, vcc_hi, v2 :: v_dual_mul_f32 v7, exec_lo, v3 ; encoding: [0x6b,0x30,0x00,0xcf,0x7e,0x00,0x02,0x00,0xff,0x03,0x00,0x07]
// W64-ERR: :[[@LINE-2]]:1: error: instruction requires wavesize=32

v_dual_fmac_f32 v255, vcc_lo, v2 :: v_dual_mul_f32 v7, exec_hi, v3
// GFX1250: v_dual_fmac_f32 v255, vcc_lo, v2 :: v_dual_mul_f32 v7, exec_hi, v3 ; encoding: [0x6a,0x30,0x00,0xcf,0x7f,0x00,0x02,0x00,0xff,0x03,0x00,0x07]
// W64-ERR: :[[@LINE-2]]:1: error: instruction requires wavesize=32

v_dual_fmac_f32 v255, src_scc, v2 :: v_dual_mul_f32 v7, -1, v3
// GFX1250: v_dual_fmac_f32 v255, src_scc, v2 :: v_dual_mul_f32 v7, -1, v3 ; encoding: [0xfd,0x30,0x00,0xcf,0xc1,0x00,0x02,0x00,0xff,0x03,0x00,0x07]
// W64-ERR: :[[@LINE-2]]:1: error: instruction requires wavesize=32

v_dual_fmac_f32 v255, 0.5, v3 :: v_dual_mul_f32 v7, 0.5, v2
// GFX1250: v_dual_fmac_f32 v255, 0.5, v3 :: v_dual_mul_f32 v7, 0.5, v2 ; encoding: [0xf0,0x30,0x00,0xcf,0xf0,0x00,0x03,0x00,0xff,0x02,0x00,0x07]
// W64-ERR: :[[@LINE-2]]:1: error: instruction requires wavesize=32

v_dual_fmac_f32 v255, -1, v4 :: v_dual_mul_f32 v7, src_scc, v5
// GFX1250: v_dual_fmac_f32 v255, -1, v4 :: v_dual_mul_f32 v7, src_scc, v5 ; encoding: [0xc1,0x30,0x00,0xcf,0xfd,0x00,0x04,0x00,0xff,0x05,0x00,0x07]
// W64-ERR: :[[@LINE-2]]:1: error: instruction requires wavesize=32

v_dual_fmac_f32 v255, v4, v2 :: v_dual_sub_f32 v7, v1, v3
// GFX1250: v_dual_fmac_f32 v255, v4, v2 :: v_dual_sub_f32 v7, v1, v3 ; encoding: [0x04,0x51,0x00,0xcf,0x01,0x01,0x02,0x00,0xff,0x03,0x00,0x07]
// W64-ERR: :[[@LINE-2]]:1: error: instruction requires wavesize=32

v_dual_fmac_f32 v255, v1, v2 :: v_dual_sub_f32 v7, v255, v3
// GFX1250: v_dual_fmac_f32 v255, v1, v2 :: v_dual_sub_f32 v7, v255, v3 ; encoding: [0x01,0x51,0x00,0xcf,0xff,0x01,0x02,0x00,0xff,0x03,0x00,0x07]
	;; [unrolled: 4-line block ×7, first 2 shown]
// W64-ERR: :[[@LINE-2]]:1: error: instruction requires wavesize=32

v_dual_fmac_f32 v255, ttmp15, v2 :: v_dual_sub_f32 v7, vcc_lo, v3
// GFX1250: v_dual_fmac_f32 v255, ttmp15, v2 :: v_dual_sub_f32 v7, vcc_lo, v3 ; encoding: [0x7b,0x50,0x00,0xcf,0x6a,0x00,0x02,0x00,0xff,0x03,0x00,0x07]
// W64-ERR: :[[@LINE-2]]:1: error: instruction requires wavesize=32

v_dual_fmac_f32 v255, exec_hi, v2 :: v_dual_sub_f32 v7, vcc_hi, v3
// GFX1250: v_dual_fmac_f32 v255, exec_hi, v2 :: v_dual_sub_f32 v7, vcc_hi, v3 ; encoding: [0x7f,0x50,0x00,0xcf,0x6b,0x00,0x02,0x00,0xff,0x03,0x00,0x07]
// W64-ERR: :[[@LINE-2]]:1: error: instruction requires wavesize=32

v_dual_fmac_f32 v255, exec_lo, v2 :: v_dual_sub_f32 v7, ttmp15, v3
// GFX1250: v_dual_fmac_f32 v255, exec_lo, v2 :: v_dual_sub_f32 v7, ttmp15, v3 ; encoding: [0x7e,0x50,0x00,0xcf,0x7b,0x00,0x02,0x00,0xff,0x03,0x00,0x07]
// W64-ERR: :[[@LINE-2]]:1: error: instruction requires wavesize=32

v_dual_fmac_f32 v255, m0, v2 :: v_dual_sub_f32 v7, m0, v3
// GFX1250: v_dual_fmac_f32 v255, m0, v2 :: v_dual_sub_f32 v7, m0, v3 ; encoding: [0x7d,0x50,0x00,0xcf,0x7d,0x00,0x02,0x00,0xff,0x03,0x00,0x07]
// W64-ERR: :[[@LINE-2]]:1: error: instruction requires wavesize=32

v_dual_fmac_f32 v255, vcc_hi, v2 :: v_dual_sub_f32 v7, exec_lo, v3
// GFX1250: v_dual_fmac_f32 v255, vcc_hi, v2 :: v_dual_sub_f32 v7, exec_lo, v3 ; encoding: [0x6b,0x50,0x00,0xcf,0x7e,0x00,0x02,0x00,0xff,0x03,0x00,0x07]
// W64-ERR: :[[@LINE-2]]:1: error: instruction requires wavesize=32

v_dual_fmac_f32 v255, vcc_lo, v2 :: v_dual_sub_f32 v7, exec_hi, v3
// GFX1250: v_dual_fmac_f32 v255, vcc_lo, v2 :: v_dual_sub_f32 v7, exec_hi, v3 ; encoding: [0x6a,0x50,0x00,0xcf,0x7f,0x00,0x02,0x00,0xff,0x03,0x00,0x07]
// W64-ERR: :[[@LINE-2]]:1: error: instruction requires wavesize=32

v_dual_fmac_f32 v255, src_scc, v2 :: v_dual_sub_f32 v7, -1, v3
// GFX1250: v_dual_fmac_f32 v255, src_scc, v2 :: v_dual_sub_f32 v7, -1, v3 ; encoding: [0xfd,0x50,0x00,0xcf,0xc1,0x00,0x02,0x00,0xff,0x03,0x00,0x07]
// W64-ERR: :[[@LINE-2]]:1: error: instruction requires wavesize=32

v_dual_fmac_f32 v255, 0.5, v3 :: v_dual_sub_f32 v7, 0.5, v2
// GFX1250: v_dual_fmac_f32 v255, 0.5, v3 :: v_dual_sub_f32 v7, 0.5, v2 ; encoding: [0xf0,0x50,0x00,0xcf,0xf0,0x00,0x03,0x00,0xff,0x02,0x00,0x07]
// W64-ERR: :[[@LINE-2]]:1: error: instruction requires wavesize=32

v_dual_fmac_f32 v255, -1, v4 :: v_dual_sub_f32 v7, src_scc, v5
// GFX1250: v_dual_fmac_f32 v255, -1, v4 :: v_dual_sub_f32 v7, src_scc, v5 ; encoding: [0xc1,0x50,0x00,0xcf,0xfd,0x00,0x04,0x00,0xff,0x05,0x00,0x07]
// W64-ERR: :[[@LINE-2]]:1: error: instruction requires wavesize=32

v_dual_fmac_f32 v255, v4, v2 :: v_dual_subrev_f32 v7, v1, v3
// GFX1250: v_dual_fmac_f32 v255, v4, v2 :: v_dual_subrev_f32 v7, v1, v3 ; encoding: [0x04,0x61,0x00,0xcf,0x01,0x01,0x02,0x00,0xff,0x03,0x00,0x07]
// W64-ERR: :[[@LINE-2]]:1: error: instruction requires wavesize=32

v_dual_fmac_f32 v255, v1, v2 :: v_dual_subrev_f32 v7, v255, v3
// GFX1250: v_dual_fmac_f32 v255, v1, v2 :: v_dual_subrev_f32 v7, v255, v3 ; encoding: [0x01,0x61,0x00,0xcf,0xff,0x01,0x02,0x00,0xff,0x03,0x00,0x07]
// W64-ERR: :[[@LINE-2]]:1: error: instruction requires wavesize=32

v_dual_fmac_f32 v255, v255, v2 :: v_dual_subrev_f32 v7, v2, v3
// GFX1250: v_dual_fmac_f32 v255, v255, v2 :: v_dual_subrev_f32 v7, v2, v3 ; encoding: [0xff,0x61,0x00,0xcf,0x02,0x01,0x02,0x00,0xff,0x03,0x00,0x07]
// W64-ERR: :[[@LINE-2]]:1: error: instruction requires wavesize=32

v_dual_fmac_f32 v255, v2, v2 :: v_dual_subrev_f32 v7, v3, v3
// GFX1250: v_dual_fmac_f32 v255, v2, v2 :: v_dual_subrev_f32 v7, v3, v3 ; encoding: [0x02,0x61,0x00,0xcf,0x03,0x01,0x02,0x00,0xff,0x03,0x00,0x07]
// W64-ERR: :[[@LINE-2]]:1: error: instruction requires wavesize=32

v_dual_fmac_f32 v255, v3, v2 :: v_dual_subrev_f32 v7, v4, v3
// GFX1250: v_dual_fmac_f32 v255, v3, v2 :: v_dual_subrev_f32 v7, v4, v3 ; encoding: [0x03,0x61,0x00,0xcf,0x04,0x01,0x02,0x00,0xff,0x03,0x00,0x07]
// W64-ERR: :[[@LINE-2]]:1: error: instruction requires wavesize=32

v_dual_fmac_f32 v255, s105, v2 :: v_dual_subrev_f32 v7, s1, v3
// GFX1250: v_dual_fmac_f32 v255, s105, v2 :: v_dual_subrev_f32 v7, s1, v3 ; encoding: [0x69,0x60,0x00,0xcf,0x01,0x00,0x02,0x00,0xff,0x03,0x00,0x07]
// W64-ERR: :[[@LINE-2]]:1: error: instruction requires wavesize=32

v_dual_fmac_f32 v255, s1, v2 :: v_dual_subrev_f32 v7, s105, v3
// GFX1250: v_dual_fmac_f32 v255, s1, v2 :: v_dual_subrev_f32 v7, s105, v3 ; encoding: [0x01,0x60,0x00,0xcf,0x69,0x00,0x02,0x00,0xff,0x03,0x00,0x07]
// W64-ERR: :[[@LINE-2]]:1: error: instruction requires wavesize=32

v_dual_fmac_f32 v255, ttmp15, v2 :: v_dual_subrev_f32 v7, vcc_lo, v3
// GFX1250: v_dual_fmac_f32 v255, ttmp15, v2 :: v_dual_subrev_f32 v7, vcc_lo, v3 ; encoding: [0x7b,0x60,0x00,0xcf,0x6a,0x00,0x02,0x00,0xff,0x03,0x00,0x07]
// W64-ERR: :[[@LINE-2]]:1: error: instruction requires wavesize=32

v_dual_fmac_f32 v255, exec_hi, v2 :: v_dual_subrev_f32 v7, vcc_hi, v3
// GFX1250: v_dual_fmac_f32 v255, exec_hi, v2 :: v_dual_subrev_f32 v7, vcc_hi, v3 ; encoding: [0x7f,0x60,0x00,0xcf,0x6b,0x00,0x02,0x00,0xff,0x03,0x00,0x07]
// W64-ERR: :[[@LINE-2]]:1: error: instruction requires wavesize=32

v_dual_fmac_f32 v255, exec_lo, v2 :: v_dual_subrev_f32 v7, ttmp15, v3
// GFX1250: v_dual_fmac_f32 v255, exec_lo, v2 :: v_dual_subrev_f32 v7, ttmp15, v3 ; encoding: [0x7e,0x60,0x00,0xcf,0x7b,0x00,0x02,0x00,0xff,0x03,0x00,0x07]
// W64-ERR: :[[@LINE-2]]:1: error: instruction requires wavesize=32

v_dual_fmac_f32 v255, m0, v2 :: v_dual_subrev_f32 v7, m0, v3
// GFX1250: v_dual_fmac_f32 v255, m0, v2 :: v_dual_subrev_f32 v7, m0, v3 ; encoding: [0x7d,0x60,0x00,0xcf,0x7d,0x00,0x02,0x00,0xff,0x03,0x00,0x07]
// W64-ERR: :[[@LINE-2]]:1: error: instruction requires wavesize=32

v_dual_fmac_f32 v255, vcc_hi, v2 :: v_dual_subrev_f32 v7, exec_lo, v3
// GFX1250: v_dual_fmac_f32 v255, vcc_hi, v2 :: v_dual_subrev_f32 v7, exec_lo, v3 ; encoding: [0x6b,0x60,0x00,0xcf,0x7e,0x00,0x02,0x00,0xff,0x03,0x00,0x07]
// W64-ERR: :[[@LINE-2]]:1: error: instruction requires wavesize=32

v_dual_fmac_f32 v255, vcc_lo, v2 :: v_dual_subrev_f32 v7, exec_hi, v3
// GFX1250: v_dual_fmac_f32 v255, vcc_lo, v2 :: v_dual_subrev_f32 v7, exec_hi, v3 ; encoding: [0x6a,0x60,0x00,0xcf,0x7f,0x00,0x02,0x00,0xff,0x03,0x00,0x07]
// W64-ERR: :[[@LINE-2]]:1: error: instruction requires wavesize=32

v_dual_fmac_f32 v255, src_scc, v2 :: v_dual_subrev_f32 v7, -1, v3
// GFX1250: v_dual_fmac_f32 v255, src_scc, v2 :: v_dual_subrev_f32 v7, -1, v3 ; encoding: [0xfd,0x60,0x00,0xcf,0xc1,0x00,0x02,0x00,0xff,0x03,0x00,0x07]
// W64-ERR: :[[@LINE-2]]:1: error: instruction requires wavesize=32

v_dual_fmac_f32 v255, 0.5, v3 :: v_dual_subrev_f32 v7, 0.5, v2
// GFX1250: v_dual_fmac_f32 v255, 0.5, v3 :: v_dual_subrev_f32 v7, 0.5, v2 ; encoding: [0xf0,0x60,0x00,0xcf,0xf0,0x00,0x03,0x00,0xff,0x02,0x00,0x07]
// W64-ERR: :[[@LINE-2]]:1: error: instruction requires wavesize=32

v_dual_fmac_f32 v255, -1, v4 :: v_dual_subrev_f32 v7, src_scc, v5
// GFX1250: v_dual_fmac_f32 v255, -1, v4 :: v_dual_subrev_f32 v7, src_scc, v5 ; encoding: [0xc1,0x60,0x00,0xcf,0xfd,0x00,0x04,0x00,0xff,0x05,0x00,0x07]
// W64-ERR: :[[@LINE-2]]:1: error: instruction requires wavesize=32

v_dual_fmac_f32 v255, v4, v2 :: v_dual_fma_f32 v7, v1, v3, v4
// GFX1250: v_dual_fmac_f32 v255, v4, v2 :: v_dual_fma_f32 v7, v1, v3, v4 ; encoding: [0x04,0x31,0x01,0xcf,0x01,0x01,0x02,0x00,0xff,0x03,0x04,0x07]
// W64-ERR: :[[@LINE-2]]:1: error: instruction requires wavesize=32

v_dual_fmac_f32 v255, v4, v2 :: v_dual_bitop2_b32 v7, v1, v3 bitop3:20
// GFX1250: v_dual_fmac_f32 v255, v4, v2 :: v_dual_bitop2_b32 v7, v1, v3 bitop3:0x14 ; encoding: [0x04,0x21,0x01,0xcf,0x01,0x01,0x02,0x00,0xff,0x03,0x14,0x07]
// W64-ERR: :[[@LINE-2]]:1: error: instruction requires wavesize=32

v_dual_max_num_f32 v255, v4, v2 :: v_dual_add_f32 v7, v1, v3
// GFX1250: v_dual_max_num_f32 v255, v4, v2 :: v_dual_add_f32 v7, v1, v3 ; encoding: [0x04,0x41,0x28,0xcf,0x01,0x01,0x02,0x00,0xff,0x03,0x00,0x07]
// W64-ERR: :[[@LINE-2]]:1: error: instruction requires wavesize=32

v_dual_max_num_f32 v255, v1, v2 :: v_dual_add_f32 v7, v255, v3
// GFX1250: v_dual_max_num_f32 v255, v1, v2 :: v_dual_add_f32 v7, v255, v3 ; encoding: [0x01,0x41,0x28,0xcf,0xff,0x01,0x02,0x00,0xff,0x03,0x00,0x07]
	;; [unrolled: 4-line block ×7, first 2 shown]
// W64-ERR: :[[@LINE-2]]:1: error: instruction requires wavesize=32

v_dual_max_num_f32 v255, ttmp15, v2 :: v_dual_add_f32 v7, vcc_lo, v3
// GFX1250: v_dual_max_num_f32 v255, ttmp15, v2 :: v_dual_add_f32 v7, vcc_lo, v3 ; encoding: [0x7b,0x40,0x28,0xcf,0x6a,0x00,0x02,0x00,0xff,0x03,0x00,0x07]
// W64-ERR: :[[@LINE-2]]:1: error: instruction requires wavesize=32

v_dual_max_num_f32 v255, exec_hi, v2 :: v_dual_add_f32 v7, vcc_hi, v3
// GFX1250: v_dual_max_num_f32 v255, exec_hi, v2 :: v_dual_add_f32 v7, vcc_hi, v3 ; encoding: [0x7f,0x40,0x28,0xcf,0x6b,0x00,0x02,0x00,0xff,0x03,0x00,0x07]
// W64-ERR: :[[@LINE-2]]:1: error: instruction requires wavesize=32

v_dual_max_num_f32 v255, exec_lo, v2 :: v_dual_add_f32 v7, ttmp15, v3
// GFX1250: v_dual_max_num_f32 v255, exec_lo, v2 :: v_dual_add_f32 v7, ttmp15, v3 ; encoding: [0x7e,0x40,0x28,0xcf,0x7b,0x00,0x02,0x00,0xff,0x03,0x00,0x07]
// W64-ERR: :[[@LINE-2]]:1: error: instruction requires wavesize=32

v_dual_max_num_f32 v255, m0, v2 :: v_dual_add_f32 v7, m0, v3
// GFX1250: v_dual_max_num_f32 v255, m0, v2 :: v_dual_add_f32 v7, m0, v3 ; encoding: [0x7d,0x40,0x28,0xcf,0x7d,0x00,0x02,0x00,0xff,0x03,0x00,0x07]
// W64-ERR: :[[@LINE-2]]:1: error: instruction requires wavesize=32

v_dual_max_num_f32 v255, vcc_hi, v2 :: v_dual_add_f32 v7, exec_lo, v3
// GFX1250: v_dual_max_num_f32 v255, vcc_hi, v2 :: v_dual_add_f32 v7, exec_lo, v3 ; encoding: [0x6b,0x40,0x28,0xcf,0x7e,0x00,0x02,0x00,0xff,0x03,0x00,0x07]
// W64-ERR: :[[@LINE-2]]:1: error: instruction requires wavesize=32

v_dual_max_num_f32 v255, vcc_lo, v2 :: v_dual_add_f32 v7, exec_hi, v3
// GFX1250: v_dual_max_num_f32 v255, vcc_lo, v2 :: v_dual_add_f32 v7, exec_hi, v3 ; encoding: [0x6a,0x40,0x28,0xcf,0x7f,0x00,0x02,0x00,0xff,0x03,0x00,0x07]
// W64-ERR: :[[@LINE-2]]:1: error: instruction requires wavesize=32

v_dual_max_num_f32 v255, src_scc, v2 :: v_dual_add_f32 v7, -1, v3
// GFX1250: v_dual_max_num_f32 v255, src_scc, v2 :: v_dual_add_f32 v7, -1, v3 ; encoding: [0xfd,0x40,0x28,0xcf,0xc1,0x00,0x02,0x00,0xff,0x03,0x00,0x07]
// W64-ERR: :[[@LINE-2]]:1: error: instruction requires wavesize=32

v_dual_max_num_f32 v255, 0.5, v3 :: v_dual_add_f32 v7, 0.5, v2
// GFX1250: v_dual_max_num_f32 v255, 0.5, v3 :: v_dual_add_f32 v7, 0.5, v2 ; encoding: [0xf0,0x40,0x28,0xcf,0xf0,0x00,0x03,0x00,0xff,0x02,0x00,0x07]
// W64-ERR: :[[@LINE-2]]:1: error: instruction requires wavesize=32

v_dual_max_num_f32 v255, -1, v4 :: v_dual_add_f32 v7, src_scc, v5
// GFX1250: v_dual_max_num_f32 v255, -1, v4 :: v_dual_add_f32 v7, src_scc, v5 ; encoding: [0xc1,0x40,0x28,0xcf,0xfd,0x00,0x04,0x00,0xff,0x05,0x00,0x07]
// W64-ERR: :[[@LINE-2]]:1: error: instruction requires wavesize=32

v_dual_max_num_f32 v255, v4, v2 :: v_dual_add_nc_u32 v7, v1, v3
// GFX1250: v_dual_max_num_f32 v255, v4, v2 :: v_dual_add_nc_u32 v7, v1, v3 ; encoding: [0x04,0x01,0x29,0xcf,0x01,0x01,0x02,0x00,0xff,0x03,0x00,0x07]
// W64-ERR: :[[@LINE-2]]:1: error: instruction requires wavesize=32

v_dual_max_num_f32 v255, v1, v2 :: v_dual_add_nc_u32 v7, v255, v3
// GFX1250: v_dual_max_num_f32 v255, v1, v2 :: v_dual_add_nc_u32 v7, v255, v3 ; encoding: [0x01,0x01,0x29,0xcf,0xff,0x01,0x02,0x00,0xff,0x03,0x00,0x07]
	;; [unrolled: 4-line block ×7, first 2 shown]
// W64-ERR: :[[@LINE-2]]:1: error: instruction requires wavesize=32

v_dual_max_num_f32 v255, ttmp15, v2 :: v_dual_add_nc_u32 v7, vcc_lo, v3
// GFX1250: v_dual_max_num_f32 v255, ttmp15, v2 :: v_dual_add_nc_u32 v7, vcc_lo, v3 ; encoding: [0x7b,0x00,0x29,0xcf,0x6a,0x00,0x02,0x00,0xff,0x03,0x00,0x07]
// W64-ERR: :[[@LINE-2]]:1: error: instruction requires wavesize=32

v_dual_max_num_f32 v255, exec_hi, v2 :: v_dual_add_nc_u32 v7, vcc_hi, v3
// GFX1250: v_dual_max_num_f32 v255, exec_hi, v2 :: v_dual_add_nc_u32 v7, vcc_hi, v3 ; encoding: [0x7f,0x00,0x29,0xcf,0x6b,0x00,0x02,0x00,0xff,0x03,0x00,0x07]
// W64-ERR: :[[@LINE-2]]:1: error: instruction requires wavesize=32

v_dual_max_num_f32 v255, exec_lo, v2 :: v_dual_add_nc_u32 v7, ttmp15, v3
// GFX1250: v_dual_max_num_f32 v255, exec_lo, v2 :: v_dual_add_nc_u32 v7, ttmp15, v3 ; encoding: [0x7e,0x00,0x29,0xcf,0x7b,0x00,0x02,0x00,0xff,0x03,0x00,0x07]
// W64-ERR: :[[@LINE-2]]:1: error: instruction requires wavesize=32

v_dual_max_num_f32 v255, m0, v2 :: v_dual_add_nc_u32 v7, m0, v3
// GFX1250: v_dual_max_num_f32 v255, m0, v2 :: v_dual_add_nc_u32 v7, m0, v3 ; encoding: [0x7d,0x00,0x29,0xcf,0x7d,0x00,0x02,0x00,0xff,0x03,0x00,0x07]
// W64-ERR: :[[@LINE-2]]:1: error: instruction requires wavesize=32

v_dual_max_num_f32 v255, vcc_hi, v2 :: v_dual_add_nc_u32 v7, exec_lo, v3
// GFX1250: v_dual_max_num_f32 v255, vcc_hi, v2 :: v_dual_add_nc_u32 v7, exec_lo, v3 ; encoding: [0x6b,0x00,0x29,0xcf,0x7e,0x00,0x02,0x00,0xff,0x03,0x00,0x07]
// W64-ERR: :[[@LINE-2]]:1: error: instruction requires wavesize=32

v_dual_max_num_f32 v255, vcc_lo, v2 :: v_dual_add_nc_u32 v7, exec_hi, v3
// GFX1250: v_dual_max_num_f32 v255, vcc_lo, v2 :: v_dual_add_nc_u32 v7, exec_hi, v3 ; encoding: [0x6a,0x00,0x29,0xcf,0x7f,0x00,0x02,0x00,0xff,0x03,0x00,0x07]
// W64-ERR: :[[@LINE-2]]:1: error: instruction requires wavesize=32

v_dual_max_num_f32 v255, src_scc, v2 :: v_dual_add_nc_u32 v7, -1, v3
// GFX1250: v_dual_max_num_f32 v255, src_scc, v2 :: v_dual_add_nc_u32 v7, -1, v3 ; encoding: [0xfd,0x00,0x29,0xcf,0xc1,0x00,0x02,0x00,0xff,0x03,0x00,0x07]
// W64-ERR: :[[@LINE-2]]:1: error: instruction requires wavesize=32

v_dual_max_num_f32 v255, 0.5, v3 :: v_dual_add_nc_u32 v7, 0.5, v2
// GFX1250: v_dual_max_num_f32 v255, 0.5, v3 :: v_dual_add_nc_u32 v7, 0.5, v2 ; encoding: [0xf0,0x00,0x29,0xcf,0xf0,0x00,0x03,0x00,0xff,0x02,0x00,0x07]
// W64-ERR: :[[@LINE-2]]:1: error: instruction requires wavesize=32

v_dual_max_num_f32 v255, -1, v4 :: v_dual_add_nc_u32 v7, src_scc, v5
// GFX1250: v_dual_max_num_f32 v255, -1, v4 :: v_dual_add_nc_u32 v7, src_scc, v5 ; encoding: [0xc1,0x00,0x29,0xcf,0xfd,0x00,0x04,0x00,0xff,0x05,0x00,0x07]
// W64-ERR: :[[@LINE-2]]:1: error: instruction requires wavesize=32

v_dual_max_num_f32 v255, v4, v2 :: v_dual_cndmask_b32 v7, v1, v3, vcc_lo
// GFX1250: v_dual_max_num_f32 v255, v4, v2 :: v_dual_cndmask_b32 v7, v1, v3, vcc_lo ; encoding: [0x04,0x91,0x28,0xcf,0x01,0x01,0x02,0x00,0xff,0x03,0x6a,0x07]
// W64-ERR: :[[@LINE-2]]:1: error: instruction requires wavesize=32

v_dual_max_num_f32 v255, v1, v2 :: v_dual_cndmask_b32 v7, v255, v3, vcc_lo
// GFX1250: v_dual_max_num_f32 v255, v1, v2 :: v_dual_cndmask_b32 v7, v255, v3, vcc_lo ; encoding: [0x01,0x91,0x28,0xcf,0xff,0x01,0x02,0x00,0xff,0x03,0x6a,0x07]
	;; [unrolled: 4-line block ×7, first 2 shown]
// W64-ERR: :[[@LINE-2]]:1: error: instruction requires wavesize=32

v_dual_max_num_f32 v255, ttmp15, v2 :: v_dual_cndmask_b32 v7, ttmp15, v3, vcc_lo
// GFX1250: v_dual_max_num_f32 v255, ttmp15, v2 :: v_dual_cndmask_b32 v7, ttmp15, v3, vcc_lo ; encoding: [0x7b,0x90,0x28,0xcf,0x7b,0x00,0x02,0x00,0xff,0x03,0x6a,0x07]
// W64-ERR: :[[@LINE-2]]:1: error: instruction requires wavesize=32

v_dual_max_num_f32 v255, exec_hi, v2 :: v_dual_cndmask_b32 v7, exec_hi, v3, vcc_lo
// GFX1250: v_dual_max_num_f32 v255, exec_hi, v2 :: v_dual_cndmask_b32 v7, exec_hi, v3, vcc_lo ; encoding: [0x7f,0x90,0x28,0xcf,0x7f,0x00,0x02,0x00,0xff,0x03,0x6a,0x07]
// W64-ERR: :[[@LINE-2]]:1: error: instruction requires wavesize=32

v_dual_max_num_f32 v255, exec_lo, v2 :: v_dual_cndmask_b32 v7, exec_lo, v3, vcc_lo
// GFX1250: v_dual_max_num_f32 v255, exec_lo, v2 :: v_dual_cndmask_b32 v7, exec_lo, v3, vcc_lo ; encoding: [0x7e,0x90,0x28,0xcf,0x7e,0x00,0x02,0x00,0xff,0x03,0x6a,0x07]
// W64-ERR: :[[@LINE-2]]:1: error: instruction requires wavesize=32

v_dual_max_num_f32 v255, m0, v2 :: v_dual_cndmask_b32 v7, m0, v3, vcc_lo
// GFX1250: v_dual_max_num_f32 v255, m0, v2 :: v_dual_cndmask_b32 v7, m0, v3, vcc_lo ; encoding: [0x7d,0x90,0x28,0xcf,0x7d,0x00,0x02,0x00,0xff,0x03,0x6a,0x07]
// W64-ERR: :[[@LINE-2]]:1: error: instruction requires wavesize=32

v_dual_max_num_f32 v255, vcc_hi, v2 :: v_dual_cndmask_b32 v7, vcc_hi, v3, vcc_lo
// GFX1250: v_dual_max_num_f32 v255, vcc_hi, v2 :: v_dual_cndmask_b32 v7, vcc_hi, v3, vcc_lo ; encoding: [0x6b,0x90,0x28,0xcf,0x6b,0x00,0x02,0x00,0xff,0x03,0x6a,0x07]
// W64-ERR: :[[@LINE-2]]:1: error: instruction requires wavesize=32

v_dual_max_num_f32 v255, vcc_lo, v2 :: v_dual_cndmask_b32 v7, vcc_lo, v3, vcc_lo
// GFX1250: v_dual_max_num_f32 v255, vcc_lo, v2 :: v_dual_cndmask_b32 v7, vcc_lo, v3, vcc_lo ; encoding: [0x6a,0x90,0x28,0xcf,0x6a,0x00,0x02,0x00,0xff,0x03,0x6a,0x07]
// W64-ERR: :[[@LINE-2]]:1: error: instruction requires wavesize=32

v_dual_max_num_f32 v255, src_scc, v2 :: v_dual_cndmask_b32 v7, -1, v3, vcc_lo
// GFX1250: v_dual_max_num_f32 v255, src_scc, v2 :: v_dual_cndmask_b32 v7, -1, v3, vcc_lo ; encoding: [0xfd,0x90,0x28,0xcf,0xc1,0x00,0x02,0x00,0xff,0x03,0x6a,0x07]
// W64-ERR: :[[@LINE-2]]:1: error: instruction requires wavesize=32

v_dual_max_num_f32 v255, 0.5, v3 :: v_dual_cndmask_b32 v7, 0.5, v2, vcc_lo
// GFX1250: v_dual_max_num_f32 v255, 0.5, v3 :: v_dual_cndmask_b32 v7, 0.5, v2, vcc_lo ; encoding: [0xf0,0x90,0x28,0xcf,0xf0,0x00,0x03,0x00,0xff,0x02,0x6a,0x07]
// W64-ERR: :[[@LINE-2]]:1: error: instruction requires wavesize=32

v_dual_max_num_f32 v255, -1, v4 :: v_dual_cndmask_b32 v7, src_scc, v5, vcc_lo
// GFX1250: v_dual_max_num_f32 v255, -1, v4 :: v_dual_cndmask_b32 v7, src_scc, v5, vcc_lo ; encoding: [0xc1,0x90,0x28,0xcf,0xfd,0x00,0x04,0x00,0xff,0x05,0x6a,0x07]
// W64-ERR: :[[@LINE-2]]:1: error: instruction requires wavesize=32

v_dual_max_num_f32 v255, v4, v2 :: v_dual_fmac_f32 v7, v1, v3
// GFX1250: v_dual_max_num_f32 v255, v4, v2 :: v_dual_fmac_f32 v7, v1, v3 ; encoding: [0x04,0x01,0x28,0xcf,0x01,0x01,0x02,0x00,0xff,0x03,0x00,0x07]
// W64-ERR: :[[@LINE-2]]:1: error: instruction requires wavesize=32

v_dual_max_num_f32 v255, v1, v2 :: v_dual_fmac_f32 v7, v255, v3
// GFX1250: v_dual_max_num_f32 v255, v1, v2 :: v_dual_fmac_f32 v7, v255, v3 ; encoding: [0x01,0x01,0x28,0xcf,0xff,0x01,0x02,0x00,0xff,0x03,0x00,0x07]
	;; [unrolled: 4-line block ×7, first 2 shown]
// W64-ERR: :[[@LINE-2]]:1: error: instruction requires wavesize=32

v_dual_max_num_f32 v255, ttmp15, v2 :: v_dual_fmac_f32 v7, vcc_lo, v3
// GFX1250: v_dual_max_num_f32 v255, ttmp15, v2 :: v_dual_fmac_f32 v7, vcc_lo, v3 ; encoding: [0x7b,0x00,0x28,0xcf,0x6a,0x00,0x02,0x00,0xff,0x03,0x00,0x07]
// W64-ERR: :[[@LINE-2]]:1: error: instruction requires wavesize=32

v_dual_max_num_f32 v255, exec_hi, v2 :: v_dual_fmac_f32 v7, vcc_hi, v3
// GFX1250: v_dual_max_num_f32 v255, exec_hi, v2 :: v_dual_fmac_f32 v7, vcc_hi, v3 ; encoding: [0x7f,0x00,0x28,0xcf,0x6b,0x00,0x02,0x00,0xff,0x03,0x00,0x07]
// W64-ERR: :[[@LINE-2]]:1: error: instruction requires wavesize=32

v_dual_max_num_f32 v255, exec_lo, v2 :: v_dual_fmac_f32 v7, ttmp15, v3
// GFX1250: v_dual_max_num_f32 v255, exec_lo, v2 :: v_dual_fmac_f32 v7, ttmp15, v3 ; encoding: [0x7e,0x00,0x28,0xcf,0x7b,0x00,0x02,0x00,0xff,0x03,0x00,0x07]
// W64-ERR: :[[@LINE-2]]:1: error: instruction requires wavesize=32

v_dual_max_num_f32 v255, m0, v2 :: v_dual_fmac_f32 v7, m0, v3
// GFX1250: v_dual_max_num_f32 v255, m0, v2 :: v_dual_fmac_f32 v7, m0, v3 ; encoding: [0x7d,0x00,0x28,0xcf,0x7d,0x00,0x02,0x00,0xff,0x03,0x00,0x07]
// W64-ERR: :[[@LINE-2]]:1: error: instruction requires wavesize=32

v_dual_max_num_f32 v255, vcc_hi, v2 :: v_dual_fmac_f32 v7, exec_lo, v3
// GFX1250: v_dual_max_num_f32 v255, vcc_hi, v2 :: v_dual_fmac_f32 v7, exec_lo, v3 ; encoding: [0x6b,0x00,0x28,0xcf,0x7e,0x00,0x02,0x00,0xff,0x03,0x00,0x07]
// W64-ERR: :[[@LINE-2]]:1: error: instruction requires wavesize=32

v_dual_max_num_f32 v255, vcc_lo, v2 :: v_dual_fmac_f32 v7, exec_hi, v3
// GFX1250: v_dual_max_num_f32 v255, vcc_lo, v2 :: v_dual_fmac_f32 v7, exec_hi, v3 ; encoding: [0x6a,0x00,0x28,0xcf,0x7f,0x00,0x02,0x00,0xff,0x03,0x00,0x07]
// W64-ERR: :[[@LINE-2]]:1: error: instruction requires wavesize=32

v_dual_max_num_f32 v255, src_scc, v2 :: v_dual_fmac_f32 v7, -1, v3
// GFX1250: v_dual_max_num_f32 v255, src_scc, v2 :: v_dual_fmac_f32 v7, -1, v3 ; encoding: [0xfd,0x00,0x28,0xcf,0xc1,0x00,0x02,0x00,0xff,0x03,0x00,0x07]
// W64-ERR: :[[@LINE-2]]:1: error: instruction requires wavesize=32

v_dual_max_num_f32 v255, 0.5, v3 :: v_dual_fmac_f32 v7, 0.5, v2
// GFX1250: v_dual_max_num_f32 v255, 0.5, v3 :: v_dual_fmac_f32 v7, 0.5, v2 ; encoding: [0xf0,0x00,0x28,0xcf,0xf0,0x00,0x03,0x00,0xff,0x02,0x00,0x07]
// W64-ERR: :[[@LINE-2]]:1: error: instruction requires wavesize=32

v_dual_max_num_f32 v255, -1, v4 :: v_dual_fmac_f32 v7, src_scc, v5
// GFX1250: v_dual_max_num_f32 v255, -1, v4 :: v_dual_fmac_f32 v7, src_scc, v5 ; encoding: [0xc1,0x00,0x28,0xcf,0xfd,0x00,0x04,0x00,0xff,0x05,0x00,0x07]
// W64-ERR: :[[@LINE-2]]:1: error: instruction requires wavesize=32

v_dual_max_num_f32 v255, v4, v2 :: v_dual_lshlrev_b32 v7, v1, v3
// GFX1250: v_dual_max_num_f32 v255, v4, v2 :: v_dual_lshlrev_b32 v7, v1, v3 ; encoding: [0x04,0x11,0x29,0xcf,0x01,0x01,0x02,0x00,0xff,0x03,0x00,0x07]
// W64-ERR: :[[@LINE-2]]:1: error: instruction requires wavesize=32

v_dual_max_num_f32 v255, v1, v2 :: v_dual_lshlrev_b32 v7, v255, v3
// GFX1250: v_dual_max_num_f32 v255, v1, v2 :: v_dual_lshlrev_b32 v7, v255, v3 ; encoding: [0x01,0x11,0x29,0xcf,0xff,0x01,0x02,0x00,0xff,0x03,0x00,0x07]
	;; [unrolled: 4-line block ×7, first 2 shown]
// W64-ERR: :[[@LINE-2]]:1: error: instruction requires wavesize=32

v_dual_max_num_f32 v255, ttmp15, v2 :: v_dual_lshlrev_b32 v7, vcc_lo, v3
// GFX1250: v_dual_max_num_f32 v255, ttmp15, v2 :: v_dual_lshlrev_b32 v7, vcc_lo, v3 ; encoding: [0x7b,0x10,0x29,0xcf,0x6a,0x00,0x02,0x00,0xff,0x03,0x00,0x07]
// W64-ERR: :[[@LINE-2]]:1: error: instruction requires wavesize=32

v_dual_max_num_f32 v255, exec_hi, v2 :: v_dual_lshlrev_b32 v7, vcc_hi, v3
// GFX1250: v_dual_max_num_f32 v255, exec_hi, v2 :: v_dual_lshlrev_b32 v7, vcc_hi, v3 ; encoding: [0x7f,0x10,0x29,0xcf,0x6b,0x00,0x02,0x00,0xff,0x03,0x00,0x07]
// W64-ERR: :[[@LINE-2]]:1: error: instruction requires wavesize=32

v_dual_max_num_f32 v255, exec_lo, v2 :: v_dual_lshlrev_b32 v7, ttmp15, v3
// GFX1250: v_dual_max_num_f32 v255, exec_lo, v2 :: v_dual_lshlrev_b32 v7, ttmp15, v3 ; encoding: [0x7e,0x10,0x29,0xcf,0x7b,0x00,0x02,0x00,0xff,0x03,0x00,0x07]
// W64-ERR: :[[@LINE-2]]:1: error: instruction requires wavesize=32

v_dual_max_num_f32 v255, m0, v2 :: v_dual_lshlrev_b32 v7, m0, v3
// GFX1250: v_dual_max_num_f32 v255, m0, v2 :: v_dual_lshlrev_b32 v7, m0, v3 ; encoding: [0x7d,0x10,0x29,0xcf,0x7d,0x00,0x02,0x00,0xff,0x03,0x00,0x07]
// W64-ERR: :[[@LINE-2]]:1: error: instruction requires wavesize=32

v_dual_max_num_f32 v255, vcc_hi, v2 :: v_dual_lshlrev_b32 v7, exec_lo, v3
// GFX1250: v_dual_max_num_f32 v255, vcc_hi, v2 :: v_dual_lshlrev_b32 v7, exec_lo, v3 ; encoding: [0x6b,0x10,0x29,0xcf,0x7e,0x00,0x02,0x00,0xff,0x03,0x00,0x07]
// W64-ERR: :[[@LINE-2]]:1: error: instruction requires wavesize=32

v_dual_max_num_f32 v255, vcc_lo, v2 :: v_dual_lshlrev_b32 v7, exec_hi, v3
// GFX1250: v_dual_max_num_f32 v255, vcc_lo, v2 :: v_dual_lshlrev_b32 v7, exec_hi, v3 ; encoding: [0x6a,0x10,0x29,0xcf,0x7f,0x00,0x02,0x00,0xff,0x03,0x00,0x07]
// W64-ERR: :[[@LINE-2]]:1: error: instruction requires wavesize=32

v_dual_max_num_f32 v255, src_scc, v2 :: v_dual_lshlrev_b32 v7, -1, v3
// GFX1250: v_dual_max_num_f32 v255, src_scc, v2 :: v_dual_lshlrev_b32 v7, -1, v3 ; encoding: [0xfd,0x10,0x29,0xcf,0xc1,0x00,0x02,0x00,0xff,0x03,0x00,0x07]
// W64-ERR: :[[@LINE-2]]:1: error: instruction requires wavesize=32

v_dual_max_num_f32 v255, 0.5, v3 :: v_dual_lshlrev_b32 v7, 0.5, v2
// GFX1250: v_dual_max_num_f32 v255, 0.5, v3 :: v_dual_lshlrev_b32 v7, 0.5, v2 ; encoding: [0xf0,0x10,0x29,0xcf,0xf0,0x00,0x03,0x00,0xff,0x02,0x00,0x07]
// W64-ERR: :[[@LINE-2]]:1: error: instruction requires wavesize=32

v_dual_max_num_f32 v255, -1, v4 :: v_dual_lshlrev_b32 v7, src_scc, v5
// GFX1250: v_dual_max_num_f32 v255, -1, v4 :: v_dual_lshlrev_b32 v7, src_scc, v5 ; encoding: [0xc1,0x10,0x29,0xcf,0xfd,0x00,0x04,0x00,0xff,0x05,0x00,0x07]
// W64-ERR: :[[@LINE-2]]:1: error: instruction requires wavesize=32

v_dual_max_num_f32 v255, v4, v2 :: v_dual_max_num_f32 v7, v1, v3
// GFX1250: v_dual_max_num_f32 v255, v4, v2 :: v_dual_max_num_f32 v7, v1, v3 ; encoding: [0x04,0xa1,0x28,0xcf,0x01,0x01,0x02,0x00,0xff,0x03,0x00,0x07]
// W64-ERR: :[[@LINE-2]]:1: error: instruction requires wavesize=32

v_dual_max_num_f32 v255, v1, v2 :: v_dual_max_num_f32 v7, v255, v3
// GFX1250: v_dual_max_num_f32 v255, v1, v2 :: v_dual_max_num_f32 v7, v255, v3 ; encoding: [0x01,0xa1,0x28,0xcf,0xff,0x01,0x02,0x00,0xff,0x03,0x00,0x07]
	;; [unrolled: 4-line block ×7, first 2 shown]
// W64-ERR: :[[@LINE-2]]:1: error: instruction requires wavesize=32

v_dual_max_num_f32 v255, ttmp15, v2 :: v_dual_max_num_f32 v7, vcc_lo, v3
// GFX1250: v_dual_max_num_f32 v255, ttmp15, v2 :: v_dual_max_num_f32 v7, vcc_lo, v3 ; encoding: [0x7b,0xa0,0x28,0xcf,0x6a,0x00,0x02,0x00,0xff,0x03,0x00,0x07]
// W64-ERR: :[[@LINE-2]]:1: error: instruction requires wavesize=32

v_dual_max_num_f32 v255, exec_hi, v2 :: v_dual_max_num_f32 v7, vcc_hi, v3
// GFX1250: v_dual_max_num_f32 v255, exec_hi, v2 :: v_dual_max_num_f32 v7, vcc_hi, v3 ; encoding: [0x7f,0xa0,0x28,0xcf,0x6b,0x00,0x02,0x00,0xff,0x03,0x00,0x07]
// W64-ERR: :[[@LINE-2]]:1: error: instruction requires wavesize=32

v_dual_max_num_f32 v255, exec_lo, v2 :: v_dual_max_num_f32 v7, ttmp15, v3
// GFX1250: v_dual_max_num_f32 v255, exec_lo, v2 :: v_dual_max_num_f32 v7, ttmp15, v3 ; encoding: [0x7e,0xa0,0x28,0xcf,0x7b,0x00,0x02,0x00,0xff,0x03,0x00,0x07]
// W64-ERR: :[[@LINE-2]]:1: error: instruction requires wavesize=32

v_dual_max_num_f32 v255, m0, v2 :: v_dual_max_num_f32 v7, m0, v3
// GFX1250: v_dual_max_num_f32 v255, m0, v2 :: v_dual_max_num_f32 v7, m0, v3 ; encoding: [0x7d,0xa0,0x28,0xcf,0x7d,0x00,0x02,0x00,0xff,0x03,0x00,0x07]
// W64-ERR: :[[@LINE-2]]:1: error: instruction requires wavesize=32

v_dual_max_num_f32 v255, vcc_hi, v2 :: v_dual_max_num_f32 v7, exec_lo, v3
// GFX1250: v_dual_max_num_f32 v255, vcc_hi, v2 :: v_dual_max_num_f32 v7, exec_lo, v3 ; encoding: [0x6b,0xa0,0x28,0xcf,0x7e,0x00,0x02,0x00,0xff,0x03,0x00,0x07]
// W64-ERR: :[[@LINE-2]]:1: error: instruction requires wavesize=32

v_dual_max_num_f32 v255, vcc_lo, v2 :: v_dual_max_num_f32 v7, exec_hi, v3
// GFX1250: v_dual_max_num_f32 v255, vcc_lo, v2 :: v_dual_max_num_f32 v7, exec_hi, v3 ; encoding: [0x6a,0xa0,0x28,0xcf,0x7f,0x00,0x02,0x00,0xff,0x03,0x00,0x07]
// W64-ERR: :[[@LINE-2]]:1: error: instruction requires wavesize=32

v_dual_max_num_f32 v255, src_scc, v2 :: v_dual_max_num_f32 v7, -1, v3
// GFX1250: v_dual_max_num_f32 v255, src_scc, v2 :: v_dual_max_num_f32 v7, -1, v3 ; encoding: [0xfd,0xa0,0x28,0xcf,0xc1,0x00,0x02,0x00,0xff,0x03,0x00,0x07]
// W64-ERR: :[[@LINE-2]]:1: error: instruction requires wavesize=32

v_dual_max_num_f32 v255, 0.5, v3 :: v_dual_max_num_f32 v7, 0.5, v2
// GFX1250: v_dual_max_num_f32 v255, 0.5, v3 :: v_dual_max_num_f32 v7, 0.5, v2 ; encoding: [0xf0,0xa0,0x28,0xcf,0xf0,0x00,0x03,0x00,0xff,0x02,0x00,0x07]
// W64-ERR: :[[@LINE-2]]:1: error: instruction requires wavesize=32

v_dual_max_num_f32 v255, -1, v4 :: v_dual_max_num_f32 v7, src_scc, v5
// GFX1250: v_dual_max_num_f32 v255, -1, v4 :: v_dual_max_num_f32 v7, src_scc, v5 ; encoding: [0xc1,0xa0,0x28,0xcf,0xfd,0x00,0x04,0x00,0xff,0x05,0x00,0x07]
// W64-ERR: :[[@LINE-2]]:1: error: instruction requires wavesize=32

v_dual_max_num_f32 v255, v4, v2 :: v_dual_min_num_f32 v7, v1, v3
// GFX1250: v_dual_max_num_f32 v255, v4, v2 :: v_dual_min_num_f32 v7, v1, v3 ; encoding: [0x04,0xb1,0x28,0xcf,0x01,0x01,0x02,0x00,0xff,0x03,0x00,0x07]
// W64-ERR: :[[@LINE-2]]:1: error: instruction requires wavesize=32

v_dual_max_num_f32 v255, v1, v2 :: v_dual_min_num_f32 v7, v255, v3
// GFX1250: v_dual_max_num_f32 v255, v1, v2 :: v_dual_min_num_f32 v7, v255, v3 ; encoding: [0x01,0xb1,0x28,0xcf,0xff,0x01,0x02,0x00,0xff,0x03,0x00,0x07]
	;; [unrolled: 4-line block ×7, first 2 shown]
// W64-ERR: :[[@LINE-2]]:1: error: instruction requires wavesize=32

v_dual_max_num_f32 v255, ttmp15, v2 :: v_dual_min_num_f32 v7, vcc_lo, v3
// GFX1250: v_dual_max_num_f32 v255, ttmp15, v2 :: v_dual_min_num_f32 v7, vcc_lo, v3 ; encoding: [0x7b,0xb0,0x28,0xcf,0x6a,0x00,0x02,0x00,0xff,0x03,0x00,0x07]
// W64-ERR: :[[@LINE-2]]:1: error: instruction requires wavesize=32

v_dual_max_num_f32 v255, exec_hi, v2 :: v_dual_min_num_f32 v7, vcc_hi, v3
// GFX1250: v_dual_max_num_f32 v255, exec_hi, v2 :: v_dual_min_num_f32 v7, vcc_hi, v3 ; encoding: [0x7f,0xb0,0x28,0xcf,0x6b,0x00,0x02,0x00,0xff,0x03,0x00,0x07]
// W64-ERR: :[[@LINE-2]]:1: error: instruction requires wavesize=32

v_dual_max_num_f32 v255, exec_lo, v2 :: v_dual_min_num_f32 v7, ttmp15, v3
// GFX1250: v_dual_max_num_f32 v255, exec_lo, v2 :: v_dual_min_num_f32 v7, ttmp15, v3 ; encoding: [0x7e,0xb0,0x28,0xcf,0x7b,0x00,0x02,0x00,0xff,0x03,0x00,0x07]
// W64-ERR: :[[@LINE-2]]:1: error: instruction requires wavesize=32

v_dual_max_num_f32 v255, m0, v2 :: v_dual_min_num_f32 v7, m0, v3
// GFX1250: v_dual_max_num_f32 v255, m0, v2 :: v_dual_min_num_f32 v7, m0, v3 ; encoding: [0x7d,0xb0,0x28,0xcf,0x7d,0x00,0x02,0x00,0xff,0x03,0x00,0x07]
// W64-ERR: :[[@LINE-2]]:1: error: instruction requires wavesize=32

v_dual_max_num_f32 v255, vcc_hi, v2 :: v_dual_min_num_f32 v7, exec_lo, v3
// GFX1250: v_dual_max_num_f32 v255, vcc_hi, v2 :: v_dual_min_num_f32 v7, exec_lo, v3 ; encoding: [0x6b,0xb0,0x28,0xcf,0x7e,0x00,0x02,0x00,0xff,0x03,0x00,0x07]
// W64-ERR: :[[@LINE-2]]:1: error: instruction requires wavesize=32

v_dual_max_num_f32 v255, vcc_lo, v2 :: v_dual_min_num_f32 v7, exec_hi, v3
// GFX1250: v_dual_max_num_f32 v255, vcc_lo, v2 :: v_dual_min_num_f32 v7, exec_hi, v3 ; encoding: [0x6a,0xb0,0x28,0xcf,0x7f,0x00,0x02,0x00,0xff,0x03,0x00,0x07]
// W64-ERR: :[[@LINE-2]]:1: error: instruction requires wavesize=32

v_dual_max_num_f32 v255, src_scc, v2 :: v_dual_min_num_f32 v7, -1, v3
// GFX1250: v_dual_max_num_f32 v255, src_scc, v2 :: v_dual_min_num_f32 v7, -1, v3 ; encoding: [0xfd,0xb0,0x28,0xcf,0xc1,0x00,0x02,0x00,0xff,0x03,0x00,0x07]
// W64-ERR: :[[@LINE-2]]:1: error: instruction requires wavesize=32

v_dual_max_num_f32 v255, 0.5, v3 :: v_dual_min_num_f32 v7, 0.5, v2
// GFX1250: v_dual_max_num_f32 v255, 0.5, v3 :: v_dual_min_num_f32 v7, 0.5, v2 ; encoding: [0xf0,0xb0,0x28,0xcf,0xf0,0x00,0x03,0x00,0xff,0x02,0x00,0x07]
// W64-ERR: :[[@LINE-2]]:1: error: instruction requires wavesize=32

v_dual_max_num_f32 v255, -1, v4 :: v_dual_min_num_f32 v7, src_scc, v5
// GFX1250: v_dual_max_num_f32 v255, -1, v4 :: v_dual_min_num_f32 v7, src_scc, v5 ; encoding: [0xc1,0xb0,0x28,0xcf,0xfd,0x00,0x04,0x00,0xff,0x05,0x00,0x07]
// W64-ERR: :[[@LINE-2]]:1: error: instruction requires wavesize=32

v_dual_max_num_f32 v255, v4, v255 :: v_dual_mov_b32 v7, v1
// GFX1250: v_dual_max_num_f32 v255, v4, v255 :: v_dual_mov_b32 v7, v1 ; encoding: [0x04,0x81,0x28,0xcf,0x01,0x01,0xff,0x00,0xff,0x00,0x00,0x07]
// W64-ERR: :[[@LINE-2]]:1: error: instruction requires wavesize=32

v_dual_max_num_f32 v255, v1, v255 :: v_dual_mov_b32 v7, v255
// GFX1250: v_dual_max_num_f32 v255, v1, v255 :: v_dual_mov_b32 v7, v255 ; encoding: [0x01,0x81,0x28,0xcf,0xff,0x01,0xff,0x00,0xff,0x00,0x00,0x07]
	;; [unrolled: 4-line block ×7, first 2 shown]
// W64-ERR: :[[@LINE-2]]:1: error: instruction requires wavesize=32

v_dual_max_num_f32 v255, ttmp15, v255 :: v_dual_mov_b32 v7, vcc_lo
// GFX1250: v_dual_max_num_f32 v255, ttmp15, v255 :: v_dual_mov_b32 v7, vcc_lo ; encoding: [0x7b,0x80,0x28,0xcf,0x6a,0x00,0xff,0x00,0xff,0x00,0x00,0x07]
// W64-ERR: :[[@LINE-2]]:1: error: instruction requires wavesize=32

v_dual_max_num_f32 v255, exec_hi, v255 :: v_dual_mov_b32 v7, vcc_hi
// GFX1250: v_dual_max_num_f32 v255, exec_hi, v255 :: v_dual_mov_b32 v7, vcc_hi ; encoding: [0x7f,0x80,0x28,0xcf,0x6b,0x00,0xff,0x00,0xff,0x00,0x00,0x07]
// W64-ERR: :[[@LINE-2]]:1: error: instruction requires wavesize=32

v_dual_max_num_f32 v255, exec_lo, v255 :: v_dual_mov_b32 v7, ttmp15
// GFX1250: v_dual_max_num_f32 v255, exec_lo, v255 :: v_dual_mov_b32 v7, ttmp15 ; encoding: [0x7e,0x80,0x28,0xcf,0x7b,0x00,0xff,0x00,0xff,0x00,0x00,0x07]
// W64-ERR: :[[@LINE-2]]:1: error: instruction requires wavesize=32

v_dual_max_num_f32 v255, m0, v255 :: v_dual_mov_b32 v7, m0
// GFX1250: v_dual_max_num_f32 v255, m0, v255 :: v_dual_mov_b32 v7, m0 ; encoding: [0x7d,0x80,0x28,0xcf,0x7d,0x00,0xff,0x00,0xff,0x00,0x00,0x07]
// W64-ERR: :[[@LINE-2]]:1: error: instruction requires wavesize=32

v_dual_max_num_f32 v255, vcc_hi, v255 :: v_dual_mov_b32 v7, exec_lo
// GFX1250: v_dual_max_num_f32 v255, vcc_hi, v255 :: v_dual_mov_b32 v7, exec_lo ; encoding: [0x6b,0x80,0x28,0xcf,0x7e,0x00,0xff,0x00,0xff,0x00,0x00,0x07]
// W64-ERR: :[[@LINE-2]]:1: error: instruction requires wavesize=32

v_dual_max_num_f32 v255, vcc_lo, v255 :: v_dual_mov_b32 v7, exec_hi
// GFX1250: v_dual_max_num_f32 v255, vcc_lo, v255 :: v_dual_mov_b32 v7, exec_hi ; encoding: [0x6a,0x80,0x28,0xcf,0x7f,0x00,0xff,0x00,0xff,0x00,0x00,0x07]
// W64-ERR: :[[@LINE-2]]:1: error: instruction requires wavesize=32

v_dual_max_num_f32 v255, src_scc, v255 :: v_dual_mov_b32 v7, -1
// GFX1250: v_dual_max_num_f32 v255, src_scc, v255 :: v_dual_mov_b32 v7, -1 ; encoding: [0xfd,0x80,0x28,0xcf,0xc1,0x00,0xff,0x00,0xff,0x00,0x00,0x07]
// W64-ERR: :[[@LINE-2]]:1: error: instruction requires wavesize=32

v_dual_max_num_f32 v255, 0.5, v3 :: v_dual_mov_b32 v7, 0.5
// GFX1250: v_dual_max_num_f32 v255, 0.5, v3 :: v_dual_mov_b32 v7, 0.5 ; encoding: [0xf0,0x80,0x28,0xcf,0xf0,0x00,0x03,0x00,0xff,0x00,0x00,0x07]
// W64-ERR: :[[@LINE-2]]:1: error: instruction requires wavesize=32

v_dual_max_num_f32 v255, -1, v4 :: v_dual_mov_b32 v7, src_scc
// GFX1250: v_dual_max_num_f32 v255, -1, v4 :: v_dual_mov_b32 v7, src_scc ; encoding: [0xc1,0x80,0x28,0xcf,0xfd,0x00,0x04,0x00,0xff,0x00,0x00,0x07]
// W64-ERR: :[[@LINE-2]]:1: error: instruction requires wavesize=32

v_dual_max_num_f32 v255, v4, v2 :: v_dual_mul_dx9_zero_f32 v7, v1, v3
// GFX1250: v_dual_max_num_f32 v255, v4, v2 :: v_dual_mul_dx9_zero_f32 v7, v1, v3 ; encoding: [0x04,0x71,0x28,0xcf,0x01,0x01,0x02,0x00,0xff,0x03,0x00,0x07]
// W64-ERR: :[[@LINE-2]]:1: error: instruction requires wavesize=32

v_dual_max_num_f32 v255, v1, v2 :: v_dual_mul_dx9_zero_f32 v7, v255, v3
// GFX1250: v_dual_max_num_f32 v255, v1, v2 :: v_dual_mul_dx9_zero_f32 v7, v255, v3 ; encoding: [0x01,0x71,0x28,0xcf,0xff,0x01,0x02,0x00,0xff,0x03,0x00,0x07]
// W64-ERR: :[[@LINE-2]]:1: error: instruction requires wavesize=32

v_dual_max_num_f32 v255, v255, v2 :: v_dual_mul_dx9_zero_f32 v7, v2, v3
// GFX1250: v_dual_max_num_f32 v255, v255, v2 :: v_dual_mul_dx9_zero_f32 v7, v2, v3 ; encoding: [0xff,0x71,0x28,0xcf,0x02,0x01,0x02,0x00,0xff,0x03,0x00,0x07]
// W64-ERR: :[[@LINE-2]]:1: error: instruction requires wavesize=32

v_dual_max_num_f32 v255, v2, v2 :: v_dual_mul_dx9_zero_f32 v7, v3, v3
// GFX1250: v_dual_max_num_f32 v255, v2, v2 :: v_dual_mul_dx9_zero_f32 v7, v3, v3 ; encoding: [0x02,0x71,0x28,0xcf,0x03,0x01,0x02,0x00,0xff,0x03,0x00,0x07]
// W64-ERR: :[[@LINE-2]]:1: error: instruction requires wavesize=32

v_dual_max_num_f32 v255, v3, v2 :: v_dual_mul_dx9_zero_f32 v7, v4, v3
// GFX1250: v_dual_max_num_f32 v255, v3, v2 :: v_dual_mul_dx9_zero_f32 v7, v4, v3 ; encoding: [0x03,0x71,0x28,0xcf,0x04,0x01,0x02,0x00,0xff,0x03,0x00,0x07]
// W64-ERR: :[[@LINE-2]]:1: error: instruction requires wavesize=32

v_dual_max_num_f32 v255, s105, v2 :: v_dual_mul_dx9_zero_f32 v7, s1, v3
// GFX1250: v_dual_max_num_f32 v255, s105, v2 :: v_dual_mul_dx9_zero_f32 v7, s1, v3 ; encoding: [0x69,0x70,0x28,0xcf,0x01,0x00,0x02,0x00,0xff,0x03,0x00,0x07]
// W64-ERR: :[[@LINE-2]]:1: error: instruction requires wavesize=32

v_dual_max_num_f32 v255, s1, v2 :: v_dual_mul_dx9_zero_f32 v7, s105, v3
// GFX1250: v_dual_max_num_f32 v255, s1, v2 :: v_dual_mul_dx9_zero_f32 v7, s105, v3 ; encoding: [0x01,0x70,0x28,0xcf,0x69,0x00,0x02,0x00,0xff,0x03,0x00,0x07]
// W64-ERR: :[[@LINE-2]]:1: error: instruction requires wavesize=32

v_dual_max_num_f32 v255, ttmp15, v2 :: v_dual_mul_dx9_zero_f32 v7, vcc_lo, v3
// GFX1250: v_dual_max_num_f32 v255, ttmp15, v2 :: v_dual_mul_dx9_zero_f32 v7, vcc_lo, v3 ; encoding: [0x7b,0x70,0x28,0xcf,0x6a,0x00,0x02,0x00,0xff,0x03,0x00,0x07]
// W64-ERR: :[[@LINE-2]]:1: error: instruction requires wavesize=32

v_dual_max_num_f32 v255, exec_hi, v2 :: v_dual_mul_dx9_zero_f32 v7, vcc_hi, v3
// GFX1250: v_dual_max_num_f32 v255, exec_hi, v2 :: v_dual_mul_dx9_zero_f32 v7, vcc_hi, v3 ; encoding: [0x7f,0x70,0x28,0xcf,0x6b,0x00,0x02,0x00,0xff,0x03,0x00,0x07]
// W64-ERR: :[[@LINE-2]]:1: error: instruction requires wavesize=32

v_dual_max_num_f32 v255, exec_lo, v2 :: v_dual_mul_dx9_zero_f32 v7, ttmp15, v3
// GFX1250: v_dual_max_num_f32 v255, exec_lo, v2 :: v_dual_mul_dx9_zero_f32 v7, ttmp15, v3 ; encoding: [0x7e,0x70,0x28,0xcf,0x7b,0x00,0x02,0x00,0xff,0x03,0x00,0x07]
// W64-ERR: :[[@LINE-2]]:1: error: instruction requires wavesize=32

v_dual_max_num_f32 v255, m0, v2 :: v_dual_mul_dx9_zero_f32 v7, m0, v3
// GFX1250: v_dual_max_num_f32 v255, m0, v2 :: v_dual_mul_dx9_zero_f32 v7, m0, v3 ; encoding: [0x7d,0x70,0x28,0xcf,0x7d,0x00,0x02,0x00,0xff,0x03,0x00,0x07]
// W64-ERR: :[[@LINE-2]]:1: error: instruction requires wavesize=32

v_dual_max_num_f32 v255, vcc_hi, v2 :: v_dual_mul_dx9_zero_f32 v7, exec_lo, v3
// GFX1250: v_dual_max_num_f32 v255, vcc_hi, v2 :: v_dual_mul_dx9_zero_f32 v7, exec_lo, v3 ; encoding: [0x6b,0x70,0x28,0xcf,0x7e,0x00,0x02,0x00,0xff,0x03,0x00,0x07]
// W64-ERR: :[[@LINE-2]]:1: error: instruction requires wavesize=32

v_dual_max_num_f32 v255, vcc_lo, v2 :: v_dual_mul_dx9_zero_f32 v7, exec_hi, v3
// GFX1250: v_dual_max_num_f32 v255, vcc_lo, v2 :: v_dual_mul_dx9_zero_f32 v7, exec_hi, v3 ; encoding: [0x6a,0x70,0x28,0xcf,0x7f,0x00,0x02,0x00,0xff,0x03,0x00,0x07]
// W64-ERR: :[[@LINE-2]]:1: error: instruction requires wavesize=32

v_dual_max_num_f32 v255, src_scc, v2 :: v_dual_mul_dx9_zero_f32 v7, -1, v3
// GFX1250: v_dual_max_num_f32 v255, src_scc, v2 :: v_dual_mul_dx9_zero_f32 v7, -1, v3 ; encoding: [0xfd,0x70,0x28,0xcf,0xc1,0x00,0x02,0x00,0xff,0x03,0x00,0x07]
// W64-ERR: :[[@LINE-2]]:1: error: instruction requires wavesize=32

v_dual_max_num_f32 v255, 0.5, v3 :: v_dual_mul_dx9_zero_f32 v7, 0.5, v2
// GFX1250: v_dual_max_num_f32 v255, 0.5, v3 :: v_dual_mul_dx9_zero_f32 v7, 0.5, v2 ; encoding: [0xf0,0x70,0x28,0xcf,0xf0,0x00,0x03,0x00,0xff,0x02,0x00,0x07]
// W64-ERR: :[[@LINE-2]]:1: error: instruction requires wavesize=32

v_dual_max_num_f32 v255, -1, v4 :: v_dual_mul_dx9_zero_f32 v7, src_scc, v5
// GFX1250: v_dual_max_num_f32 v255, -1, v4 :: v_dual_mul_dx9_zero_f32 v7, src_scc, v5 ; encoding: [0xc1,0x70,0x28,0xcf,0xfd,0x00,0x04,0x00,0xff,0x05,0x00,0x07]
// W64-ERR: :[[@LINE-2]]:1: error: instruction requires wavesize=32

v_dual_max_num_f32 v255, v4, v2 :: v_dual_mul_f32 v7, v1, v3
// GFX1250: v_dual_max_num_f32 v255, v4, v2 :: v_dual_mul_f32 v7, v1, v3 ; encoding: [0x04,0x31,0x28,0xcf,0x01,0x01,0x02,0x00,0xff,0x03,0x00,0x07]
// W64-ERR: :[[@LINE-2]]:1: error: instruction requires wavesize=32

v_dual_max_num_f32 v255, v1, v2 :: v_dual_mul_f32 v7, v255, v3
// GFX1250: v_dual_max_num_f32 v255, v1, v2 :: v_dual_mul_f32 v7, v255, v3 ; encoding: [0x01,0x31,0x28,0xcf,0xff,0x01,0x02,0x00,0xff,0x03,0x00,0x07]
	;; [unrolled: 4-line block ×7, first 2 shown]
// W64-ERR: :[[@LINE-2]]:1: error: instruction requires wavesize=32

v_dual_max_num_f32 v255, ttmp15, v2 :: v_dual_mul_f32 v7, vcc_lo, v3
// GFX1250: v_dual_max_num_f32 v255, ttmp15, v2 :: v_dual_mul_f32 v7, vcc_lo, v3 ; encoding: [0x7b,0x30,0x28,0xcf,0x6a,0x00,0x02,0x00,0xff,0x03,0x00,0x07]
// W64-ERR: :[[@LINE-2]]:1: error: instruction requires wavesize=32

v_dual_max_num_f32 v255, exec_hi, v2 :: v_dual_mul_f32 v7, vcc_hi, v3
// GFX1250: v_dual_max_num_f32 v255, exec_hi, v2 :: v_dual_mul_f32 v7, vcc_hi, v3 ; encoding: [0x7f,0x30,0x28,0xcf,0x6b,0x00,0x02,0x00,0xff,0x03,0x00,0x07]
// W64-ERR: :[[@LINE-2]]:1: error: instruction requires wavesize=32

v_dual_max_num_f32 v255, exec_lo, v2 :: v_dual_mul_f32 v7, ttmp15, v3
// GFX1250: v_dual_max_num_f32 v255, exec_lo, v2 :: v_dual_mul_f32 v7, ttmp15, v3 ; encoding: [0x7e,0x30,0x28,0xcf,0x7b,0x00,0x02,0x00,0xff,0x03,0x00,0x07]
// W64-ERR: :[[@LINE-2]]:1: error: instruction requires wavesize=32

v_dual_max_num_f32 v255, m0, v2 :: v_dual_mul_f32 v7, m0, v3
// GFX1250: v_dual_max_num_f32 v255, m0, v2 :: v_dual_mul_f32 v7, m0, v3 ; encoding: [0x7d,0x30,0x28,0xcf,0x7d,0x00,0x02,0x00,0xff,0x03,0x00,0x07]
// W64-ERR: :[[@LINE-2]]:1: error: instruction requires wavesize=32

v_dual_max_num_f32 v255, vcc_hi, v2 :: v_dual_mul_f32 v7, exec_lo, v3
// GFX1250: v_dual_max_num_f32 v255, vcc_hi, v2 :: v_dual_mul_f32 v7, exec_lo, v3 ; encoding: [0x6b,0x30,0x28,0xcf,0x7e,0x00,0x02,0x00,0xff,0x03,0x00,0x07]
// W64-ERR: :[[@LINE-2]]:1: error: instruction requires wavesize=32

v_dual_max_num_f32 v255, vcc_lo, v2 :: v_dual_mul_f32 v7, exec_hi, v3
// GFX1250: v_dual_max_num_f32 v255, vcc_lo, v2 :: v_dual_mul_f32 v7, exec_hi, v3 ; encoding: [0x6a,0x30,0x28,0xcf,0x7f,0x00,0x02,0x00,0xff,0x03,0x00,0x07]
// W64-ERR: :[[@LINE-2]]:1: error: instruction requires wavesize=32

v_dual_max_num_f32 v255, src_scc, v2 :: v_dual_mul_f32 v7, -1, v3
// GFX1250: v_dual_max_num_f32 v255, src_scc, v2 :: v_dual_mul_f32 v7, -1, v3 ; encoding: [0xfd,0x30,0x28,0xcf,0xc1,0x00,0x02,0x00,0xff,0x03,0x00,0x07]
// W64-ERR: :[[@LINE-2]]:1: error: instruction requires wavesize=32

v_dual_max_num_f32 v255, 0.5, v3 :: v_dual_mul_f32 v7, 0.5, v2
// GFX1250: v_dual_max_num_f32 v255, 0.5, v3 :: v_dual_mul_f32 v7, 0.5, v2 ; encoding: [0xf0,0x30,0x28,0xcf,0xf0,0x00,0x03,0x00,0xff,0x02,0x00,0x07]
// W64-ERR: :[[@LINE-2]]:1: error: instruction requires wavesize=32

v_dual_max_num_f32 v255, -1, v4 :: v_dual_mul_f32 v7, src_scc, v5
// GFX1250: v_dual_max_num_f32 v255, -1, v4 :: v_dual_mul_f32 v7, src_scc, v5 ; encoding: [0xc1,0x30,0x28,0xcf,0xfd,0x00,0x04,0x00,0xff,0x05,0x00,0x07]
// W64-ERR: :[[@LINE-2]]:1: error: instruction requires wavesize=32

v_dual_max_num_f32 v255, v4, v2 :: v_dual_sub_f32 v7, v1, v3
// GFX1250: v_dual_max_num_f32 v255, v4, v2 :: v_dual_sub_f32 v7, v1, v3 ; encoding: [0x04,0x51,0x28,0xcf,0x01,0x01,0x02,0x00,0xff,0x03,0x00,0x07]
// W64-ERR: :[[@LINE-2]]:1: error: instruction requires wavesize=32

v_dual_max_num_f32 v255, v1, v2 :: v_dual_sub_f32 v7, v255, v3
// GFX1250: v_dual_max_num_f32 v255, v1, v2 :: v_dual_sub_f32 v7, v255, v3 ; encoding: [0x01,0x51,0x28,0xcf,0xff,0x01,0x02,0x00,0xff,0x03,0x00,0x07]
	;; [unrolled: 4-line block ×7, first 2 shown]
// W64-ERR: :[[@LINE-2]]:1: error: instruction requires wavesize=32

v_dual_max_num_f32 v255, ttmp15, v2 :: v_dual_sub_f32 v7, vcc_lo, v3
// GFX1250: v_dual_max_num_f32 v255, ttmp15, v2 :: v_dual_sub_f32 v7, vcc_lo, v3 ; encoding: [0x7b,0x50,0x28,0xcf,0x6a,0x00,0x02,0x00,0xff,0x03,0x00,0x07]
// W64-ERR: :[[@LINE-2]]:1: error: instruction requires wavesize=32

v_dual_max_num_f32 v255, exec_hi, v2 :: v_dual_sub_f32 v7, vcc_hi, v3
// GFX1250: v_dual_max_num_f32 v255, exec_hi, v2 :: v_dual_sub_f32 v7, vcc_hi, v3 ; encoding: [0x7f,0x50,0x28,0xcf,0x6b,0x00,0x02,0x00,0xff,0x03,0x00,0x07]
// W64-ERR: :[[@LINE-2]]:1: error: instruction requires wavesize=32

v_dual_max_num_f32 v255, exec_lo, v2 :: v_dual_sub_f32 v7, ttmp15, v3
// GFX1250: v_dual_max_num_f32 v255, exec_lo, v2 :: v_dual_sub_f32 v7, ttmp15, v3 ; encoding: [0x7e,0x50,0x28,0xcf,0x7b,0x00,0x02,0x00,0xff,0x03,0x00,0x07]
// W64-ERR: :[[@LINE-2]]:1: error: instruction requires wavesize=32

v_dual_max_num_f32 v255, m0, v2 :: v_dual_sub_f32 v7, m0, v3
// GFX1250: v_dual_max_num_f32 v255, m0, v2 :: v_dual_sub_f32 v7, m0, v3 ; encoding: [0x7d,0x50,0x28,0xcf,0x7d,0x00,0x02,0x00,0xff,0x03,0x00,0x07]
// W64-ERR: :[[@LINE-2]]:1: error: instruction requires wavesize=32

v_dual_max_num_f32 v255, vcc_hi, v2 :: v_dual_sub_f32 v7, exec_lo, v3
// GFX1250: v_dual_max_num_f32 v255, vcc_hi, v2 :: v_dual_sub_f32 v7, exec_lo, v3 ; encoding: [0x6b,0x50,0x28,0xcf,0x7e,0x00,0x02,0x00,0xff,0x03,0x00,0x07]
// W64-ERR: :[[@LINE-2]]:1: error: instruction requires wavesize=32

v_dual_max_num_f32 v255, vcc_lo, v2 :: v_dual_sub_f32 v7, exec_hi, v3
// GFX1250: v_dual_max_num_f32 v255, vcc_lo, v2 :: v_dual_sub_f32 v7, exec_hi, v3 ; encoding: [0x6a,0x50,0x28,0xcf,0x7f,0x00,0x02,0x00,0xff,0x03,0x00,0x07]
// W64-ERR: :[[@LINE-2]]:1: error: instruction requires wavesize=32

v_dual_max_num_f32 v255, src_scc, v2 :: v_dual_sub_f32 v7, -1, v3
// GFX1250: v_dual_max_num_f32 v255, src_scc, v2 :: v_dual_sub_f32 v7, -1, v3 ; encoding: [0xfd,0x50,0x28,0xcf,0xc1,0x00,0x02,0x00,0xff,0x03,0x00,0x07]
// W64-ERR: :[[@LINE-2]]:1: error: instruction requires wavesize=32

v_dual_max_num_f32 v255, 0.5, v3 :: v_dual_sub_f32 v7, 0.5, v2
// GFX1250: v_dual_max_num_f32 v255, 0.5, v3 :: v_dual_sub_f32 v7, 0.5, v2 ; encoding: [0xf0,0x50,0x28,0xcf,0xf0,0x00,0x03,0x00,0xff,0x02,0x00,0x07]
// W64-ERR: :[[@LINE-2]]:1: error: instruction requires wavesize=32

v_dual_max_num_f32 v255, -1, v4 :: v_dual_sub_f32 v7, src_scc, v5
// GFX1250: v_dual_max_num_f32 v255, -1, v4 :: v_dual_sub_f32 v7, src_scc, v5 ; encoding: [0xc1,0x50,0x28,0xcf,0xfd,0x00,0x04,0x00,0xff,0x05,0x00,0x07]
// W64-ERR: :[[@LINE-2]]:1: error: instruction requires wavesize=32

v_dual_max_num_f32 v255, v4, v2 :: v_dual_subrev_f32 v7, v1, v3
// GFX1250: v_dual_max_num_f32 v255, v4, v2 :: v_dual_subrev_f32 v7, v1, v3 ; encoding: [0x04,0x61,0x28,0xcf,0x01,0x01,0x02,0x00,0xff,0x03,0x00,0x07]
// W64-ERR: :[[@LINE-2]]:1: error: instruction requires wavesize=32

v_dual_max_num_f32 v255, v1, v2 :: v_dual_subrev_f32 v7, v255, v3
// GFX1250: v_dual_max_num_f32 v255, v1, v2 :: v_dual_subrev_f32 v7, v255, v3 ; encoding: [0x01,0x61,0x28,0xcf,0xff,0x01,0x02,0x00,0xff,0x03,0x00,0x07]
	;; [unrolled: 4-line block ×7, first 2 shown]
// W64-ERR: :[[@LINE-2]]:1: error: instruction requires wavesize=32

v_dual_max_num_f32 v255, ttmp15, v2 :: v_dual_subrev_f32 v7, vcc_lo, v3
// GFX1250: v_dual_max_num_f32 v255, ttmp15, v2 :: v_dual_subrev_f32 v7, vcc_lo, v3 ; encoding: [0x7b,0x60,0x28,0xcf,0x6a,0x00,0x02,0x00,0xff,0x03,0x00,0x07]
// W64-ERR: :[[@LINE-2]]:1: error: instruction requires wavesize=32

v_dual_max_num_f32 v255, exec_hi, v2 :: v_dual_subrev_f32 v7, vcc_hi, v3
// GFX1250: v_dual_max_num_f32 v255, exec_hi, v2 :: v_dual_subrev_f32 v7, vcc_hi, v3 ; encoding: [0x7f,0x60,0x28,0xcf,0x6b,0x00,0x02,0x00,0xff,0x03,0x00,0x07]
// W64-ERR: :[[@LINE-2]]:1: error: instruction requires wavesize=32

v_dual_max_num_f32 v255, exec_lo, v2 :: v_dual_subrev_f32 v7, ttmp15, v3
// GFX1250: v_dual_max_num_f32 v255, exec_lo, v2 :: v_dual_subrev_f32 v7, ttmp15, v3 ; encoding: [0x7e,0x60,0x28,0xcf,0x7b,0x00,0x02,0x00,0xff,0x03,0x00,0x07]
// W64-ERR: :[[@LINE-2]]:1: error: instruction requires wavesize=32

v_dual_max_num_f32 v255, m0, v2 :: v_dual_subrev_f32 v7, m0, v3
// GFX1250: v_dual_max_num_f32 v255, m0, v2 :: v_dual_subrev_f32 v7, m0, v3 ; encoding: [0x7d,0x60,0x28,0xcf,0x7d,0x00,0x02,0x00,0xff,0x03,0x00,0x07]
// W64-ERR: :[[@LINE-2]]:1: error: instruction requires wavesize=32

v_dual_max_num_f32 v255, vcc_hi, v2 :: v_dual_subrev_f32 v7, exec_lo, v3
// GFX1250: v_dual_max_num_f32 v255, vcc_hi, v2 :: v_dual_subrev_f32 v7, exec_lo, v3 ; encoding: [0x6b,0x60,0x28,0xcf,0x7e,0x00,0x02,0x00,0xff,0x03,0x00,0x07]
// W64-ERR: :[[@LINE-2]]:1: error: instruction requires wavesize=32

v_dual_max_num_f32 v255, vcc_lo, v2 :: v_dual_subrev_f32 v7, exec_hi, v3
// GFX1250: v_dual_max_num_f32 v255, vcc_lo, v2 :: v_dual_subrev_f32 v7, exec_hi, v3 ; encoding: [0x6a,0x60,0x28,0xcf,0x7f,0x00,0x02,0x00,0xff,0x03,0x00,0x07]
// W64-ERR: :[[@LINE-2]]:1: error: instruction requires wavesize=32

v_dual_max_num_f32 v255, src_scc, v2 :: v_dual_subrev_f32 v7, -1, v3
// GFX1250: v_dual_max_num_f32 v255, src_scc, v2 :: v_dual_subrev_f32 v7, -1, v3 ; encoding: [0xfd,0x60,0x28,0xcf,0xc1,0x00,0x02,0x00,0xff,0x03,0x00,0x07]
// W64-ERR: :[[@LINE-2]]:1: error: instruction requires wavesize=32

v_dual_max_num_f32 v255, 0.5, v3 :: v_dual_subrev_f32 v7, 0.5, v2
// GFX1250: v_dual_max_num_f32 v255, 0.5, v3 :: v_dual_subrev_f32 v7, 0.5, v2 ; encoding: [0xf0,0x60,0x28,0xcf,0xf0,0x00,0x03,0x00,0xff,0x02,0x00,0x07]
// W64-ERR: :[[@LINE-2]]:1: error: instruction requires wavesize=32

v_dual_max_num_f32 v255, -1, v4 :: v_dual_subrev_f32 v7, src_scc, v5
// GFX1250: v_dual_max_num_f32 v255, -1, v4 :: v_dual_subrev_f32 v7, src_scc, v5 ; encoding: [0xc1,0x60,0x28,0xcf,0xfd,0x00,0x04,0x00,0xff,0x05,0x00,0x07]
// W64-ERR: :[[@LINE-2]]:1: error: instruction requires wavesize=32

v_dual_max_num_f32 v255, v4, v2 :: v_dual_fma_f32 v7, v1, v3, v4
// GFX1250: v_dual_max_num_f32 v255, v4, v2 :: v_dual_fma_f32 v7, v1, v3, v4 ; encoding: [0x04,0x31,0x29,0xcf,0x01,0x01,0x02,0x00,0xff,0x03,0x04,0x07]
// W64-ERR: :[[@LINE-2]]:1: error: instruction requires wavesize=32

v_dual_max_num_f32 v255, v4, v2 :: v_dual_bitop2_b32 v7, v1, v3 bitop3:0x6e
// GFX1250: v_dual_max_num_f32 v255, v4, v2 :: v_dual_bitop2_b32 v7, v1, v3 bitop3:0x6e ; encoding: [0x04,0x21,0x29,0xcf,0x01,0x01,0x02,0x00,0xff,0x03,0x6e,0x07]
// W64-ERR: :[[@LINE-2]]:1: error: instruction requires wavesize=32

v_dual_min_num_f32 v255, v4, v2 :: v_dual_add_f32 v7, v1, v3
// GFX1250: v_dual_min_num_f32 v255, v4, v2 :: v_dual_add_f32 v7, v1, v3 ; encoding: [0x04,0x41,0x2c,0xcf,0x01,0x01,0x02,0x00,0xff,0x03,0x00,0x07]
// W64-ERR: :[[@LINE-2]]:1: error: instruction requires wavesize=32

v_dual_min_num_f32 v255, v1, v2 :: v_dual_add_f32 v7, v255, v3
// GFX1250: v_dual_min_num_f32 v255, v1, v2 :: v_dual_add_f32 v7, v255, v3 ; encoding: [0x01,0x41,0x2c,0xcf,0xff,0x01,0x02,0x00,0xff,0x03,0x00,0x07]
	;; [unrolled: 4-line block ×7, first 2 shown]
// W64-ERR: :[[@LINE-2]]:1: error: instruction requires wavesize=32

v_dual_min_num_f32 v255, ttmp15, v2 :: v_dual_add_f32 v7, vcc_lo, v3
// GFX1250: v_dual_min_num_f32 v255, ttmp15, v2 :: v_dual_add_f32 v7, vcc_lo, v3 ; encoding: [0x7b,0x40,0x2c,0xcf,0x6a,0x00,0x02,0x00,0xff,0x03,0x00,0x07]
// W64-ERR: :[[@LINE-2]]:1: error: instruction requires wavesize=32

v_dual_min_num_f32 v255, exec_hi, v2 :: v_dual_add_f32 v7, vcc_hi, v3
// GFX1250: v_dual_min_num_f32 v255, exec_hi, v2 :: v_dual_add_f32 v7, vcc_hi, v3 ; encoding: [0x7f,0x40,0x2c,0xcf,0x6b,0x00,0x02,0x00,0xff,0x03,0x00,0x07]
// W64-ERR: :[[@LINE-2]]:1: error: instruction requires wavesize=32

v_dual_min_num_f32 v255, exec_lo, v2 :: v_dual_add_f32 v7, ttmp15, v3
// GFX1250: v_dual_min_num_f32 v255, exec_lo, v2 :: v_dual_add_f32 v7, ttmp15, v3 ; encoding: [0x7e,0x40,0x2c,0xcf,0x7b,0x00,0x02,0x00,0xff,0x03,0x00,0x07]
// W64-ERR: :[[@LINE-2]]:1: error: instruction requires wavesize=32

v_dual_min_num_f32 v255, m0, v2 :: v_dual_add_f32 v7, m0, v3
// GFX1250: v_dual_min_num_f32 v255, m0, v2 :: v_dual_add_f32 v7, m0, v3 ; encoding: [0x7d,0x40,0x2c,0xcf,0x7d,0x00,0x02,0x00,0xff,0x03,0x00,0x07]
// W64-ERR: :[[@LINE-2]]:1: error: instruction requires wavesize=32

v_dual_min_num_f32 v255, vcc_hi, v2 :: v_dual_add_f32 v7, exec_lo, v3
// GFX1250: v_dual_min_num_f32 v255, vcc_hi, v2 :: v_dual_add_f32 v7, exec_lo, v3 ; encoding: [0x6b,0x40,0x2c,0xcf,0x7e,0x00,0x02,0x00,0xff,0x03,0x00,0x07]
// W64-ERR: :[[@LINE-2]]:1: error: instruction requires wavesize=32

v_dual_min_num_f32 v255, vcc_lo, v2 :: v_dual_add_f32 v7, exec_hi, v3
// GFX1250: v_dual_min_num_f32 v255, vcc_lo, v2 :: v_dual_add_f32 v7, exec_hi, v3 ; encoding: [0x6a,0x40,0x2c,0xcf,0x7f,0x00,0x02,0x00,0xff,0x03,0x00,0x07]
// W64-ERR: :[[@LINE-2]]:1: error: instruction requires wavesize=32

v_dual_min_num_f32 v255, src_scc, v2 :: v_dual_add_f32 v7, -1, v3
// GFX1250: v_dual_min_num_f32 v255, src_scc, v2 :: v_dual_add_f32 v7, -1, v3 ; encoding: [0xfd,0x40,0x2c,0xcf,0xc1,0x00,0x02,0x00,0xff,0x03,0x00,0x07]
// W64-ERR: :[[@LINE-2]]:1: error: instruction requires wavesize=32

v_dual_min_num_f32 v255, 0.5, v3 :: v_dual_add_f32 v7, 0.5, v2
// GFX1250: v_dual_min_num_f32 v255, 0.5, v3 :: v_dual_add_f32 v7, 0.5, v2 ; encoding: [0xf0,0x40,0x2c,0xcf,0xf0,0x00,0x03,0x00,0xff,0x02,0x00,0x07]
// W64-ERR: :[[@LINE-2]]:1: error: instruction requires wavesize=32

v_dual_min_num_f32 v255, -1, v4 :: v_dual_add_f32 v7, src_scc, v5
// GFX1250: v_dual_min_num_f32 v255, -1, v4 :: v_dual_add_f32 v7, src_scc, v5 ; encoding: [0xc1,0x40,0x2c,0xcf,0xfd,0x00,0x04,0x00,0xff,0x05,0x00,0x07]
// W64-ERR: :[[@LINE-2]]:1: error: instruction requires wavesize=32

v_dual_min_num_f32 v255, v4, v2 :: v_dual_add_nc_u32 v7, v1, v3
// GFX1250: v_dual_min_num_f32 v255, v4, v2 :: v_dual_add_nc_u32 v7, v1, v3 ; encoding: [0x04,0x01,0x2d,0xcf,0x01,0x01,0x02,0x00,0xff,0x03,0x00,0x07]
// W64-ERR: :[[@LINE-2]]:1: error: instruction requires wavesize=32

v_dual_min_num_f32 v255, v1, v2 :: v_dual_add_nc_u32 v7, v255, v3
// GFX1250: v_dual_min_num_f32 v255, v1, v2 :: v_dual_add_nc_u32 v7, v255, v3 ; encoding: [0x01,0x01,0x2d,0xcf,0xff,0x01,0x02,0x00,0xff,0x03,0x00,0x07]
	;; [unrolled: 4-line block ×7, first 2 shown]
// W64-ERR: :[[@LINE-2]]:1: error: instruction requires wavesize=32

v_dual_min_num_f32 v255, ttmp15, v2 :: v_dual_add_nc_u32 v7, vcc_lo, v3
// GFX1250: v_dual_min_num_f32 v255, ttmp15, v2 :: v_dual_add_nc_u32 v7, vcc_lo, v3 ; encoding: [0x7b,0x00,0x2d,0xcf,0x6a,0x00,0x02,0x00,0xff,0x03,0x00,0x07]
// W64-ERR: :[[@LINE-2]]:1: error: instruction requires wavesize=32

v_dual_min_num_f32 v255, exec_hi, v2 :: v_dual_add_nc_u32 v7, vcc_hi, v3
// GFX1250: v_dual_min_num_f32 v255, exec_hi, v2 :: v_dual_add_nc_u32 v7, vcc_hi, v3 ; encoding: [0x7f,0x00,0x2d,0xcf,0x6b,0x00,0x02,0x00,0xff,0x03,0x00,0x07]
// W64-ERR: :[[@LINE-2]]:1: error: instruction requires wavesize=32

v_dual_min_num_f32 v255, exec_lo, v2 :: v_dual_add_nc_u32 v7, ttmp15, v3
// GFX1250: v_dual_min_num_f32 v255, exec_lo, v2 :: v_dual_add_nc_u32 v7, ttmp15, v3 ; encoding: [0x7e,0x00,0x2d,0xcf,0x7b,0x00,0x02,0x00,0xff,0x03,0x00,0x07]
// W64-ERR: :[[@LINE-2]]:1: error: instruction requires wavesize=32

v_dual_min_num_f32 v255, m0, v2 :: v_dual_add_nc_u32 v7, m0, v3
// GFX1250: v_dual_min_num_f32 v255, m0, v2 :: v_dual_add_nc_u32 v7, m0, v3 ; encoding: [0x7d,0x00,0x2d,0xcf,0x7d,0x00,0x02,0x00,0xff,0x03,0x00,0x07]
// W64-ERR: :[[@LINE-2]]:1: error: instruction requires wavesize=32

v_dual_min_num_f32 v255, vcc_hi, v2 :: v_dual_add_nc_u32 v7, exec_lo, v3
// GFX1250: v_dual_min_num_f32 v255, vcc_hi, v2 :: v_dual_add_nc_u32 v7, exec_lo, v3 ; encoding: [0x6b,0x00,0x2d,0xcf,0x7e,0x00,0x02,0x00,0xff,0x03,0x00,0x07]
// W64-ERR: :[[@LINE-2]]:1: error: instruction requires wavesize=32

v_dual_min_num_f32 v255, vcc_lo, v2 :: v_dual_add_nc_u32 v7, exec_hi, v3
// GFX1250: v_dual_min_num_f32 v255, vcc_lo, v2 :: v_dual_add_nc_u32 v7, exec_hi, v3 ; encoding: [0x6a,0x00,0x2d,0xcf,0x7f,0x00,0x02,0x00,0xff,0x03,0x00,0x07]
// W64-ERR: :[[@LINE-2]]:1: error: instruction requires wavesize=32

v_dual_min_num_f32 v255, src_scc, v2 :: v_dual_add_nc_u32 v7, -1, v3
// GFX1250: v_dual_min_num_f32 v255, src_scc, v2 :: v_dual_add_nc_u32 v7, -1, v3 ; encoding: [0xfd,0x00,0x2d,0xcf,0xc1,0x00,0x02,0x00,0xff,0x03,0x00,0x07]
// W64-ERR: :[[@LINE-2]]:1: error: instruction requires wavesize=32

v_dual_min_num_f32 v255, 0.5, v3 :: v_dual_add_nc_u32 v7, 0.5, v2
// GFX1250: v_dual_min_num_f32 v255, 0.5, v3 :: v_dual_add_nc_u32 v7, 0.5, v2 ; encoding: [0xf0,0x00,0x2d,0xcf,0xf0,0x00,0x03,0x00,0xff,0x02,0x00,0x07]
// W64-ERR: :[[@LINE-2]]:1: error: instruction requires wavesize=32

v_dual_min_num_f32 v255, -1, v4 :: v_dual_add_nc_u32 v7, src_scc, v5
// GFX1250: v_dual_min_num_f32 v255, -1, v4 :: v_dual_add_nc_u32 v7, src_scc, v5 ; encoding: [0xc1,0x00,0x2d,0xcf,0xfd,0x00,0x04,0x00,0xff,0x05,0x00,0x07]
// W64-ERR: :[[@LINE-2]]:1: error: instruction requires wavesize=32

v_dual_min_num_f32 v255, v4, v2 :: v_dual_cndmask_b32 v7, v1, v3, vcc_lo
// GFX1250: v_dual_min_num_f32 v255, v4, v2 :: v_dual_cndmask_b32 v7, v1, v3, vcc_lo ; encoding: [0x04,0x91,0x2c,0xcf,0x01,0x01,0x02,0x00,0xff,0x03,0x6a,0x07]
// W64-ERR: :[[@LINE-2]]:1: error: instruction requires wavesize=32

v_dual_min_num_f32 v255, v1, v2 :: v_dual_cndmask_b32 v7, v255, v3, vcc_lo
// GFX1250: v_dual_min_num_f32 v255, v1, v2 :: v_dual_cndmask_b32 v7, v255, v3, vcc_lo ; encoding: [0x01,0x91,0x2c,0xcf,0xff,0x01,0x02,0x00,0xff,0x03,0x6a,0x07]
	;; [unrolled: 4-line block ×7, first 2 shown]
// W64-ERR: :[[@LINE-2]]:1: error: instruction requires wavesize=32

v_dual_min_num_f32 v255, ttmp15, v2 :: v_dual_cndmask_b32 v7, ttmp15, v3, vcc_lo
// GFX1250: v_dual_min_num_f32 v255, ttmp15, v2 :: v_dual_cndmask_b32 v7, ttmp15, v3, vcc_lo ; encoding: [0x7b,0x90,0x2c,0xcf,0x7b,0x00,0x02,0x00,0xff,0x03,0x6a,0x07]
// W64-ERR: :[[@LINE-2]]:1: error: instruction requires wavesize=32

v_dual_min_num_f32 v255, exec_hi, v2 :: v_dual_cndmask_b32 v7, exec_hi, v3, vcc_lo
// GFX1250: v_dual_min_num_f32 v255, exec_hi, v2 :: v_dual_cndmask_b32 v7, exec_hi, v3, vcc_lo ; encoding: [0x7f,0x90,0x2c,0xcf,0x7f,0x00,0x02,0x00,0xff,0x03,0x6a,0x07]
// W64-ERR: :[[@LINE-2]]:1: error: instruction requires wavesize=32

v_dual_min_num_f32 v255, exec_lo, v2 :: v_dual_cndmask_b32 v7, exec_lo, v3, vcc_lo
// GFX1250: v_dual_min_num_f32 v255, exec_lo, v2 :: v_dual_cndmask_b32 v7, exec_lo, v3, vcc_lo ; encoding: [0x7e,0x90,0x2c,0xcf,0x7e,0x00,0x02,0x00,0xff,0x03,0x6a,0x07]
// W64-ERR: :[[@LINE-2]]:1: error: instruction requires wavesize=32

v_dual_min_num_f32 v255, m0, v2 :: v_dual_cndmask_b32 v7, m0, v3, vcc_lo
// GFX1250: v_dual_min_num_f32 v255, m0, v2 :: v_dual_cndmask_b32 v7, m0, v3, vcc_lo ; encoding: [0x7d,0x90,0x2c,0xcf,0x7d,0x00,0x02,0x00,0xff,0x03,0x6a,0x07]
// W64-ERR: :[[@LINE-2]]:1: error: instruction requires wavesize=32

v_dual_min_num_f32 v255, vcc_hi, v2 :: v_dual_cndmask_b32 v7, vcc_hi, v3, vcc_lo
// GFX1250: v_dual_min_num_f32 v255, vcc_hi, v2 :: v_dual_cndmask_b32 v7, vcc_hi, v3, vcc_lo ; encoding: [0x6b,0x90,0x2c,0xcf,0x6b,0x00,0x02,0x00,0xff,0x03,0x6a,0x07]
// W64-ERR: :[[@LINE-2]]:1: error: instruction requires wavesize=32

v_dual_min_num_f32 v255, vcc_lo, v2 :: v_dual_cndmask_b32 v7, vcc_lo, v3, vcc_lo
// GFX1250: v_dual_min_num_f32 v255, vcc_lo, v2 :: v_dual_cndmask_b32 v7, vcc_lo, v3, vcc_lo ; encoding: [0x6a,0x90,0x2c,0xcf,0x6a,0x00,0x02,0x00,0xff,0x03,0x6a,0x07]
// W64-ERR: :[[@LINE-2]]:1: error: instruction requires wavesize=32

v_dual_min_num_f32 v255, src_scc, v2 :: v_dual_cndmask_b32 v7, -1, v3, vcc_lo
// GFX1250: v_dual_min_num_f32 v255, src_scc, v2 :: v_dual_cndmask_b32 v7, -1, v3, vcc_lo ; encoding: [0xfd,0x90,0x2c,0xcf,0xc1,0x00,0x02,0x00,0xff,0x03,0x6a,0x07]
// W64-ERR: :[[@LINE-2]]:1: error: instruction requires wavesize=32

v_dual_min_num_f32 v255, 0.5, v3 :: v_dual_cndmask_b32 v7, 0.5, v2, vcc_lo
// GFX1250: v_dual_min_num_f32 v255, 0.5, v3 :: v_dual_cndmask_b32 v7, 0.5, v2, vcc_lo ; encoding: [0xf0,0x90,0x2c,0xcf,0xf0,0x00,0x03,0x00,0xff,0x02,0x6a,0x07]
// W64-ERR: :[[@LINE-2]]:1: error: instruction requires wavesize=32

v_dual_min_num_f32 v255, -1, v4 :: v_dual_cndmask_b32 v7, src_scc, v5, vcc_lo
// GFX1250: v_dual_min_num_f32 v255, -1, v4 :: v_dual_cndmask_b32 v7, src_scc, v5, vcc_lo ; encoding: [0xc1,0x90,0x2c,0xcf,0xfd,0x00,0x04,0x00,0xff,0x05,0x6a,0x07]
// W64-ERR: :[[@LINE-2]]:1: error: instruction requires wavesize=32

v_dual_min_num_f32 v255, v4, v2 :: v_dual_fmac_f32 v7, v1, v3
// GFX1250: v_dual_min_num_f32 v255, v4, v2 :: v_dual_fmac_f32 v7, v1, v3 ; encoding: [0x04,0x01,0x2c,0xcf,0x01,0x01,0x02,0x00,0xff,0x03,0x00,0x07]
// W64-ERR: :[[@LINE-2]]:1: error: instruction requires wavesize=32

v_dual_min_num_f32 v255, v1, v2 :: v_dual_fmac_f32 v7, v255, v3
// GFX1250: v_dual_min_num_f32 v255, v1, v2 :: v_dual_fmac_f32 v7, v255, v3 ; encoding: [0x01,0x01,0x2c,0xcf,0xff,0x01,0x02,0x00,0xff,0x03,0x00,0x07]
	;; [unrolled: 4-line block ×7, first 2 shown]
// W64-ERR: :[[@LINE-2]]:1: error: instruction requires wavesize=32

v_dual_min_num_f32 v255, ttmp15, v2 :: v_dual_fmac_f32 v7, vcc_lo, v3
// GFX1250: v_dual_min_num_f32 v255, ttmp15, v2 :: v_dual_fmac_f32 v7, vcc_lo, v3 ; encoding: [0x7b,0x00,0x2c,0xcf,0x6a,0x00,0x02,0x00,0xff,0x03,0x00,0x07]
// W64-ERR: :[[@LINE-2]]:1: error: instruction requires wavesize=32

v_dual_min_num_f32 v255, exec_hi, v2 :: v_dual_fmac_f32 v7, vcc_hi, v3
// GFX1250: v_dual_min_num_f32 v255, exec_hi, v2 :: v_dual_fmac_f32 v7, vcc_hi, v3 ; encoding: [0x7f,0x00,0x2c,0xcf,0x6b,0x00,0x02,0x00,0xff,0x03,0x00,0x07]
// W64-ERR: :[[@LINE-2]]:1: error: instruction requires wavesize=32

v_dual_min_num_f32 v255, exec_lo, v2 :: v_dual_fmac_f32 v7, ttmp15, v3
// GFX1250: v_dual_min_num_f32 v255, exec_lo, v2 :: v_dual_fmac_f32 v7, ttmp15, v3 ; encoding: [0x7e,0x00,0x2c,0xcf,0x7b,0x00,0x02,0x00,0xff,0x03,0x00,0x07]
// W64-ERR: :[[@LINE-2]]:1: error: instruction requires wavesize=32

v_dual_min_num_f32 v255, m0, v2 :: v_dual_fmac_f32 v7, m0, v3
// GFX1250: v_dual_min_num_f32 v255, m0, v2 :: v_dual_fmac_f32 v7, m0, v3 ; encoding: [0x7d,0x00,0x2c,0xcf,0x7d,0x00,0x02,0x00,0xff,0x03,0x00,0x07]
// W64-ERR: :[[@LINE-2]]:1: error: instruction requires wavesize=32

v_dual_min_num_f32 v255, vcc_hi, v2 :: v_dual_fmac_f32 v7, exec_lo, v3
// GFX1250: v_dual_min_num_f32 v255, vcc_hi, v2 :: v_dual_fmac_f32 v7, exec_lo, v3 ; encoding: [0x6b,0x00,0x2c,0xcf,0x7e,0x00,0x02,0x00,0xff,0x03,0x00,0x07]
// W64-ERR: :[[@LINE-2]]:1: error: instruction requires wavesize=32

v_dual_min_num_f32 v255, vcc_lo, v2 :: v_dual_fmac_f32 v7, exec_hi, v3
// GFX1250: v_dual_min_num_f32 v255, vcc_lo, v2 :: v_dual_fmac_f32 v7, exec_hi, v3 ; encoding: [0x6a,0x00,0x2c,0xcf,0x7f,0x00,0x02,0x00,0xff,0x03,0x00,0x07]
// W64-ERR: :[[@LINE-2]]:1: error: instruction requires wavesize=32

v_dual_min_num_f32 v255, src_scc, v2 :: v_dual_fmac_f32 v7, -1, v3
// GFX1250: v_dual_min_num_f32 v255, src_scc, v2 :: v_dual_fmac_f32 v7, -1, v3 ; encoding: [0xfd,0x00,0x2c,0xcf,0xc1,0x00,0x02,0x00,0xff,0x03,0x00,0x07]
// W64-ERR: :[[@LINE-2]]:1: error: instruction requires wavesize=32

v_dual_min_num_f32 v255, 0.5, v3 :: v_dual_fmac_f32 v7, 0.5, v2
// GFX1250: v_dual_min_num_f32 v255, 0.5, v3 :: v_dual_fmac_f32 v7, 0.5, v2 ; encoding: [0xf0,0x00,0x2c,0xcf,0xf0,0x00,0x03,0x00,0xff,0x02,0x00,0x07]
// W64-ERR: :[[@LINE-2]]:1: error: instruction requires wavesize=32

v_dual_min_num_f32 v255, -1, v4 :: v_dual_fmac_f32 v7, src_scc, v5
// GFX1250: v_dual_min_num_f32 v255, -1, v4 :: v_dual_fmac_f32 v7, src_scc, v5 ; encoding: [0xc1,0x00,0x2c,0xcf,0xfd,0x00,0x04,0x00,0xff,0x05,0x00,0x07]
// W64-ERR: :[[@LINE-2]]:1: error: instruction requires wavesize=32

v_dual_min_num_f32 v255, v4, v2 :: v_dual_lshlrev_b32 v7, v1, v3
// GFX1250: v_dual_min_num_f32 v255, v4, v2 :: v_dual_lshlrev_b32 v7, v1, v3 ; encoding: [0x04,0x11,0x2d,0xcf,0x01,0x01,0x02,0x00,0xff,0x03,0x00,0x07]
// W64-ERR: :[[@LINE-2]]:1: error: instruction requires wavesize=32

v_dual_min_num_f32 v255, v1, v2 :: v_dual_lshlrev_b32 v7, v255, v3
// GFX1250: v_dual_min_num_f32 v255, v1, v2 :: v_dual_lshlrev_b32 v7, v255, v3 ; encoding: [0x01,0x11,0x2d,0xcf,0xff,0x01,0x02,0x00,0xff,0x03,0x00,0x07]
	;; [unrolled: 4-line block ×7, first 2 shown]
// W64-ERR: :[[@LINE-2]]:1: error: instruction requires wavesize=32

v_dual_min_num_f32 v255, ttmp15, v2 :: v_dual_lshlrev_b32 v7, vcc_lo, v3
// GFX1250: v_dual_min_num_f32 v255, ttmp15, v2 :: v_dual_lshlrev_b32 v7, vcc_lo, v3 ; encoding: [0x7b,0x10,0x2d,0xcf,0x6a,0x00,0x02,0x00,0xff,0x03,0x00,0x07]
// W64-ERR: :[[@LINE-2]]:1: error: instruction requires wavesize=32

v_dual_min_num_f32 v255, exec_hi, v2 :: v_dual_lshlrev_b32 v7, vcc_hi, v3
// GFX1250: v_dual_min_num_f32 v255, exec_hi, v2 :: v_dual_lshlrev_b32 v7, vcc_hi, v3 ; encoding: [0x7f,0x10,0x2d,0xcf,0x6b,0x00,0x02,0x00,0xff,0x03,0x00,0x07]
// W64-ERR: :[[@LINE-2]]:1: error: instruction requires wavesize=32

v_dual_min_num_f32 v255, exec_lo, v2 :: v_dual_lshlrev_b32 v7, ttmp15, v3
// GFX1250: v_dual_min_num_f32 v255, exec_lo, v2 :: v_dual_lshlrev_b32 v7, ttmp15, v3 ; encoding: [0x7e,0x10,0x2d,0xcf,0x7b,0x00,0x02,0x00,0xff,0x03,0x00,0x07]
// W64-ERR: :[[@LINE-2]]:1: error: instruction requires wavesize=32

v_dual_min_num_f32 v255, m0, v2 :: v_dual_lshlrev_b32 v7, m0, v3
// GFX1250: v_dual_min_num_f32 v255, m0, v2 :: v_dual_lshlrev_b32 v7, m0, v3 ; encoding: [0x7d,0x10,0x2d,0xcf,0x7d,0x00,0x02,0x00,0xff,0x03,0x00,0x07]
// W64-ERR: :[[@LINE-2]]:1: error: instruction requires wavesize=32

v_dual_min_num_f32 v255, vcc_hi, v2 :: v_dual_lshlrev_b32 v7, exec_lo, v3
// GFX1250: v_dual_min_num_f32 v255, vcc_hi, v2 :: v_dual_lshlrev_b32 v7, exec_lo, v3 ; encoding: [0x6b,0x10,0x2d,0xcf,0x7e,0x00,0x02,0x00,0xff,0x03,0x00,0x07]
// W64-ERR: :[[@LINE-2]]:1: error: instruction requires wavesize=32

v_dual_min_num_f32 v255, vcc_lo, v2 :: v_dual_lshlrev_b32 v7, exec_hi, v3
// GFX1250: v_dual_min_num_f32 v255, vcc_lo, v2 :: v_dual_lshlrev_b32 v7, exec_hi, v3 ; encoding: [0x6a,0x10,0x2d,0xcf,0x7f,0x00,0x02,0x00,0xff,0x03,0x00,0x07]
// W64-ERR: :[[@LINE-2]]:1: error: instruction requires wavesize=32

v_dual_min_num_f32 v255, src_scc, v2 :: v_dual_lshlrev_b32 v7, -1, v3
// GFX1250: v_dual_min_num_f32 v255, src_scc, v2 :: v_dual_lshlrev_b32 v7, -1, v3 ; encoding: [0xfd,0x10,0x2d,0xcf,0xc1,0x00,0x02,0x00,0xff,0x03,0x00,0x07]
// W64-ERR: :[[@LINE-2]]:1: error: instruction requires wavesize=32

v_dual_min_num_f32 v255, 0.5, v3 :: v_dual_lshlrev_b32 v7, 0.5, v2
// GFX1250: v_dual_min_num_f32 v255, 0.5, v3 :: v_dual_lshlrev_b32 v7, 0.5, v2 ; encoding: [0xf0,0x10,0x2d,0xcf,0xf0,0x00,0x03,0x00,0xff,0x02,0x00,0x07]
// W64-ERR: :[[@LINE-2]]:1: error: instruction requires wavesize=32

v_dual_min_num_f32 v255, -1, v4 :: v_dual_lshlrev_b32 v7, src_scc, v5
// GFX1250: v_dual_min_num_f32 v255, -1, v4 :: v_dual_lshlrev_b32 v7, src_scc, v5 ; encoding: [0xc1,0x10,0x2d,0xcf,0xfd,0x00,0x04,0x00,0xff,0x05,0x00,0x07]
// W64-ERR: :[[@LINE-2]]:1: error: instruction requires wavesize=32

v_dual_min_num_f32 v255, v4, v2 :: v_dual_max_num_f32 v7, v1, v3
// GFX1250: v_dual_min_num_f32 v255, v4, v2 :: v_dual_max_num_f32 v7, v1, v3 ; encoding: [0x04,0xa1,0x2c,0xcf,0x01,0x01,0x02,0x00,0xff,0x03,0x00,0x07]
// W64-ERR: :[[@LINE-2]]:1: error: instruction requires wavesize=32

v_dual_min_num_f32 v255, v1, v2 :: v_dual_max_num_f32 v7, v255, v3
// GFX1250: v_dual_min_num_f32 v255, v1, v2 :: v_dual_max_num_f32 v7, v255, v3 ; encoding: [0x01,0xa1,0x2c,0xcf,0xff,0x01,0x02,0x00,0xff,0x03,0x00,0x07]
	;; [unrolled: 4-line block ×7, first 2 shown]
// W64-ERR: :[[@LINE-2]]:1: error: instruction requires wavesize=32

v_dual_min_num_f32 v255, ttmp15, v2 :: v_dual_max_num_f32 v7, vcc_lo, v3
// GFX1250: v_dual_min_num_f32 v255, ttmp15, v2 :: v_dual_max_num_f32 v7, vcc_lo, v3 ; encoding: [0x7b,0xa0,0x2c,0xcf,0x6a,0x00,0x02,0x00,0xff,0x03,0x00,0x07]
// W64-ERR: :[[@LINE-2]]:1: error: instruction requires wavesize=32

v_dual_min_num_f32 v255, exec_hi, v2 :: v_dual_max_num_f32 v7, vcc_hi, v3
// GFX1250: v_dual_min_num_f32 v255, exec_hi, v2 :: v_dual_max_num_f32 v7, vcc_hi, v3 ; encoding: [0x7f,0xa0,0x2c,0xcf,0x6b,0x00,0x02,0x00,0xff,0x03,0x00,0x07]
// W64-ERR: :[[@LINE-2]]:1: error: instruction requires wavesize=32

v_dual_min_num_f32 v255, exec_lo, v2 :: v_dual_max_num_f32 v7, ttmp15, v3
// GFX1250: v_dual_min_num_f32 v255, exec_lo, v2 :: v_dual_max_num_f32 v7, ttmp15, v3 ; encoding: [0x7e,0xa0,0x2c,0xcf,0x7b,0x00,0x02,0x00,0xff,0x03,0x00,0x07]
// W64-ERR: :[[@LINE-2]]:1: error: instruction requires wavesize=32

v_dual_min_num_f32 v255, m0, v2 :: v_dual_max_num_f32 v7, m0, v3
// GFX1250: v_dual_min_num_f32 v255, m0, v2 :: v_dual_max_num_f32 v7, m0, v3 ; encoding: [0x7d,0xa0,0x2c,0xcf,0x7d,0x00,0x02,0x00,0xff,0x03,0x00,0x07]
// W64-ERR: :[[@LINE-2]]:1: error: instruction requires wavesize=32

v_dual_min_num_f32 v255, vcc_hi, v2 :: v_dual_max_num_f32 v7, exec_lo, v3
// GFX1250: v_dual_min_num_f32 v255, vcc_hi, v2 :: v_dual_max_num_f32 v7, exec_lo, v3 ; encoding: [0x6b,0xa0,0x2c,0xcf,0x7e,0x00,0x02,0x00,0xff,0x03,0x00,0x07]
// W64-ERR: :[[@LINE-2]]:1: error: instruction requires wavesize=32

v_dual_min_num_f32 v255, vcc_lo, v2 :: v_dual_max_num_f32 v7, exec_hi, v3
// GFX1250: v_dual_min_num_f32 v255, vcc_lo, v2 :: v_dual_max_num_f32 v7, exec_hi, v3 ; encoding: [0x6a,0xa0,0x2c,0xcf,0x7f,0x00,0x02,0x00,0xff,0x03,0x00,0x07]
// W64-ERR: :[[@LINE-2]]:1: error: instruction requires wavesize=32

v_dual_min_num_f32 v255, src_scc, v2 :: v_dual_max_num_f32 v7, -1, v3
// GFX1250: v_dual_min_num_f32 v255, src_scc, v2 :: v_dual_max_num_f32 v7, -1, v3 ; encoding: [0xfd,0xa0,0x2c,0xcf,0xc1,0x00,0x02,0x00,0xff,0x03,0x00,0x07]
// W64-ERR: :[[@LINE-2]]:1: error: instruction requires wavesize=32

v_dual_min_num_f32 v255, 0.5, v3 :: v_dual_max_num_f32 v7, 0.5, v2
// GFX1250: v_dual_min_num_f32 v255, 0.5, v3 :: v_dual_max_num_f32 v7, 0.5, v2 ; encoding: [0xf0,0xa0,0x2c,0xcf,0xf0,0x00,0x03,0x00,0xff,0x02,0x00,0x07]
// W64-ERR: :[[@LINE-2]]:1: error: instruction requires wavesize=32

v_dual_min_num_f32 v255, -1, v4 :: v_dual_max_num_f32 v7, src_scc, v5
// GFX1250: v_dual_min_num_f32 v255, -1, v4 :: v_dual_max_num_f32 v7, src_scc, v5 ; encoding: [0xc1,0xa0,0x2c,0xcf,0xfd,0x00,0x04,0x00,0xff,0x05,0x00,0x07]
// W64-ERR: :[[@LINE-2]]:1: error: instruction requires wavesize=32

v_dual_min_num_f32 v255, v4, v2 :: v_dual_min_num_f32 v7, v1, v3
// GFX1250: v_dual_min_num_f32 v255, v4, v2 :: v_dual_min_num_f32 v7, v1, v3 ; encoding: [0x04,0xb1,0x2c,0xcf,0x01,0x01,0x02,0x00,0xff,0x03,0x00,0x07]
// W64-ERR: :[[@LINE-2]]:1: error: instruction requires wavesize=32

v_dual_min_num_f32 v255, v1, v2 :: v_dual_min_num_f32 v7, v255, v3
// GFX1250: v_dual_min_num_f32 v255, v1, v2 :: v_dual_min_num_f32 v7, v255, v3 ; encoding: [0x01,0xb1,0x2c,0xcf,0xff,0x01,0x02,0x00,0xff,0x03,0x00,0x07]
	;; [unrolled: 4-line block ×7, first 2 shown]
// W64-ERR: :[[@LINE-2]]:1: error: instruction requires wavesize=32

v_dual_min_num_f32 v255, ttmp15, v2 :: v_dual_min_num_f32 v7, vcc_lo, v3
// GFX1250: v_dual_min_num_f32 v255, ttmp15, v2 :: v_dual_min_num_f32 v7, vcc_lo, v3 ; encoding: [0x7b,0xb0,0x2c,0xcf,0x6a,0x00,0x02,0x00,0xff,0x03,0x00,0x07]
// W64-ERR: :[[@LINE-2]]:1: error: instruction requires wavesize=32

v_dual_min_num_f32 v255, exec_hi, v2 :: v_dual_min_num_f32 v7, vcc_hi, v3
// GFX1250: v_dual_min_num_f32 v255, exec_hi, v2 :: v_dual_min_num_f32 v7, vcc_hi, v3 ; encoding: [0x7f,0xb0,0x2c,0xcf,0x6b,0x00,0x02,0x00,0xff,0x03,0x00,0x07]
// W64-ERR: :[[@LINE-2]]:1: error: instruction requires wavesize=32

v_dual_min_num_f32 v255, exec_lo, v2 :: v_dual_min_num_f32 v7, ttmp15, v3
// GFX1250: v_dual_min_num_f32 v255, exec_lo, v2 :: v_dual_min_num_f32 v7, ttmp15, v3 ; encoding: [0x7e,0xb0,0x2c,0xcf,0x7b,0x00,0x02,0x00,0xff,0x03,0x00,0x07]
// W64-ERR: :[[@LINE-2]]:1: error: instruction requires wavesize=32

v_dual_min_num_f32 v255, m0, v2 :: v_dual_min_num_f32 v7, m0, v3
// GFX1250: v_dual_min_num_f32 v255, m0, v2 :: v_dual_min_num_f32 v7, m0, v3 ; encoding: [0x7d,0xb0,0x2c,0xcf,0x7d,0x00,0x02,0x00,0xff,0x03,0x00,0x07]
// W64-ERR: :[[@LINE-2]]:1: error: instruction requires wavesize=32

v_dual_min_num_f32 v255, vcc_hi, v2 :: v_dual_min_num_f32 v7, exec_lo, v3
// GFX1250: v_dual_min_num_f32 v255, vcc_hi, v2 :: v_dual_min_num_f32 v7, exec_lo, v3 ; encoding: [0x6b,0xb0,0x2c,0xcf,0x7e,0x00,0x02,0x00,0xff,0x03,0x00,0x07]
// W64-ERR: :[[@LINE-2]]:1: error: instruction requires wavesize=32

v_dual_min_num_f32 v255, vcc_lo, v2 :: v_dual_min_num_f32 v7, exec_hi, v3
// GFX1250: v_dual_min_num_f32 v255, vcc_lo, v2 :: v_dual_min_num_f32 v7, exec_hi, v3 ; encoding: [0x6a,0xb0,0x2c,0xcf,0x7f,0x00,0x02,0x00,0xff,0x03,0x00,0x07]
// W64-ERR: :[[@LINE-2]]:1: error: instruction requires wavesize=32

v_dual_min_num_f32 v255, src_scc, v2 :: v_dual_min_num_f32 v7, -1, v3
// GFX1250: v_dual_min_num_f32 v255, src_scc, v2 :: v_dual_min_num_f32 v7, -1, v3 ; encoding: [0xfd,0xb0,0x2c,0xcf,0xc1,0x00,0x02,0x00,0xff,0x03,0x00,0x07]
// W64-ERR: :[[@LINE-2]]:1: error: instruction requires wavesize=32

v_dual_min_num_f32 v255, 0.5, v3 :: v_dual_min_num_f32 v7, 0.5, v2
// GFX1250: v_dual_min_num_f32 v255, 0.5, v3 :: v_dual_min_num_f32 v7, 0.5, v2 ; encoding: [0xf0,0xb0,0x2c,0xcf,0xf0,0x00,0x03,0x00,0xff,0x02,0x00,0x07]
// W64-ERR: :[[@LINE-2]]:1: error: instruction requires wavesize=32

v_dual_min_num_f32 v255, -1, v4 :: v_dual_min_num_f32 v7, src_scc, v5
// GFX1250: v_dual_min_num_f32 v255, -1, v4 :: v_dual_min_num_f32 v7, src_scc, v5 ; encoding: [0xc1,0xb0,0x2c,0xcf,0xfd,0x00,0x04,0x00,0xff,0x05,0x00,0x07]
// W64-ERR: :[[@LINE-2]]:1: error: instruction requires wavesize=32

v_dual_min_num_f32 v255, v4, v255 :: v_dual_mov_b32 v7, v1
// GFX1250: v_dual_min_num_f32 v255, v4, v255 :: v_dual_mov_b32 v7, v1 ; encoding: [0x04,0x81,0x2c,0xcf,0x01,0x01,0xff,0x00,0xff,0x00,0x00,0x07]
// W64-ERR: :[[@LINE-2]]:1: error: instruction requires wavesize=32

v_dual_min_num_f32 v255, v1, v255 :: v_dual_mov_b32 v7, v255
// GFX1250: v_dual_min_num_f32 v255, v1, v255 :: v_dual_mov_b32 v7, v255 ; encoding: [0x01,0x81,0x2c,0xcf,0xff,0x01,0xff,0x00,0xff,0x00,0x00,0x07]
	;; [unrolled: 4-line block ×7, first 2 shown]
// W64-ERR: :[[@LINE-2]]:1: error: instruction requires wavesize=32

v_dual_min_num_f32 v255, ttmp15, v255 :: v_dual_mov_b32 v7, vcc_lo
// GFX1250: v_dual_min_num_f32 v255, ttmp15, v255 :: v_dual_mov_b32 v7, vcc_lo ; encoding: [0x7b,0x80,0x2c,0xcf,0x6a,0x00,0xff,0x00,0xff,0x00,0x00,0x07]
// W64-ERR: :[[@LINE-2]]:1: error: instruction requires wavesize=32

v_dual_min_num_f32 v255, exec_hi, v255 :: v_dual_mov_b32 v7, vcc_hi
// GFX1250: v_dual_min_num_f32 v255, exec_hi, v255 :: v_dual_mov_b32 v7, vcc_hi ; encoding: [0x7f,0x80,0x2c,0xcf,0x6b,0x00,0xff,0x00,0xff,0x00,0x00,0x07]
// W64-ERR: :[[@LINE-2]]:1: error: instruction requires wavesize=32

v_dual_min_num_f32 v255, exec_lo, v255 :: v_dual_mov_b32 v7, ttmp15
// GFX1250: v_dual_min_num_f32 v255, exec_lo, v255 :: v_dual_mov_b32 v7, ttmp15 ; encoding: [0x7e,0x80,0x2c,0xcf,0x7b,0x00,0xff,0x00,0xff,0x00,0x00,0x07]
// W64-ERR: :[[@LINE-2]]:1: error: instruction requires wavesize=32

v_dual_min_num_f32 v255, m0, v255 :: v_dual_mov_b32 v7, m0
// GFX1250: v_dual_min_num_f32 v255, m0, v255 :: v_dual_mov_b32 v7, m0 ; encoding: [0x7d,0x80,0x2c,0xcf,0x7d,0x00,0xff,0x00,0xff,0x00,0x00,0x07]
// W64-ERR: :[[@LINE-2]]:1: error: instruction requires wavesize=32

v_dual_min_num_f32 v255, vcc_hi, v255 :: v_dual_mov_b32 v7, exec_lo
// GFX1250: v_dual_min_num_f32 v255, vcc_hi, v255 :: v_dual_mov_b32 v7, exec_lo ; encoding: [0x6b,0x80,0x2c,0xcf,0x7e,0x00,0xff,0x00,0xff,0x00,0x00,0x07]
// W64-ERR: :[[@LINE-2]]:1: error: instruction requires wavesize=32

v_dual_min_num_f32 v255, vcc_lo, v255 :: v_dual_mov_b32 v7, exec_hi
// GFX1250: v_dual_min_num_f32 v255, vcc_lo, v255 :: v_dual_mov_b32 v7, exec_hi ; encoding: [0x6a,0x80,0x2c,0xcf,0x7f,0x00,0xff,0x00,0xff,0x00,0x00,0x07]
// W64-ERR: :[[@LINE-2]]:1: error: instruction requires wavesize=32

v_dual_min_num_f32 v255, src_scc, v255 :: v_dual_mov_b32 v7, -1
// GFX1250: v_dual_min_num_f32 v255, src_scc, v255 :: v_dual_mov_b32 v7, -1 ; encoding: [0xfd,0x80,0x2c,0xcf,0xc1,0x00,0xff,0x00,0xff,0x00,0x00,0x07]
// W64-ERR: :[[@LINE-2]]:1: error: instruction requires wavesize=32

v_dual_min_num_f32 v255, 0.5, v3 :: v_dual_mov_b32 v7, 0.5
// GFX1250: v_dual_min_num_f32 v255, 0.5, v3 :: v_dual_mov_b32 v7, 0.5 ; encoding: [0xf0,0x80,0x2c,0xcf,0xf0,0x00,0x03,0x00,0xff,0x00,0x00,0x07]
// W64-ERR: :[[@LINE-2]]:1: error: instruction requires wavesize=32

v_dual_min_num_f32 v255, -1, v4 :: v_dual_mov_b32 v7, src_scc
// GFX1250: v_dual_min_num_f32 v255, -1, v4 :: v_dual_mov_b32 v7, src_scc ; encoding: [0xc1,0x80,0x2c,0xcf,0xfd,0x00,0x04,0x00,0xff,0x00,0x00,0x07]
// W64-ERR: :[[@LINE-2]]:1: error: instruction requires wavesize=32

v_dual_min_num_f32 v255, v4, v2 :: v_dual_mul_dx9_zero_f32 v7, v1, v3
// GFX1250: v_dual_min_num_f32 v255, v4, v2 :: v_dual_mul_dx9_zero_f32 v7, v1, v3 ; encoding: [0x04,0x71,0x2c,0xcf,0x01,0x01,0x02,0x00,0xff,0x03,0x00,0x07]
// W64-ERR: :[[@LINE-2]]:1: error: instruction requires wavesize=32

v_dual_min_num_f32 v255, v1, v2 :: v_dual_mul_dx9_zero_f32 v7, v255, v3
// GFX1250: v_dual_min_num_f32 v255, v1, v2 :: v_dual_mul_dx9_zero_f32 v7, v255, v3 ; encoding: [0x01,0x71,0x2c,0xcf,0xff,0x01,0x02,0x00,0xff,0x03,0x00,0x07]
// W64-ERR: :[[@LINE-2]]:1: error: instruction requires wavesize=32

v_dual_min_num_f32 v255, v255, v2 :: v_dual_mul_dx9_zero_f32 v7, v2, v3
// GFX1250: v_dual_min_num_f32 v255, v255, v2 :: v_dual_mul_dx9_zero_f32 v7, v2, v3 ; encoding: [0xff,0x71,0x2c,0xcf,0x02,0x01,0x02,0x00,0xff,0x03,0x00,0x07]
// W64-ERR: :[[@LINE-2]]:1: error: instruction requires wavesize=32

v_dual_min_num_f32 v255, v2, v2 :: v_dual_mul_dx9_zero_f32 v7, v3, v3
// GFX1250: v_dual_min_num_f32 v255, v2, v2 :: v_dual_mul_dx9_zero_f32 v7, v3, v3 ; encoding: [0x02,0x71,0x2c,0xcf,0x03,0x01,0x02,0x00,0xff,0x03,0x00,0x07]
// W64-ERR: :[[@LINE-2]]:1: error: instruction requires wavesize=32

v_dual_min_num_f32 v255, v3, v2 :: v_dual_mul_dx9_zero_f32 v7, v4, v3
// GFX1250: v_dual_min_num_f32 v255, v3, v2 :: v_dual_mul_dx9_zero_f32 v7, v4, v3 ; encoding: [0x03,0x71,0x2c,0xcf,0x04,0x01,0x02,0x00,0xff,0x03,0x00,0x07]
// W64-ERR: :[[@LINE-2]]:1: error: instruction requires wavesize=32

v_dual_min_num_f32 v255, s105, v2 :: v_dual_mul_dx9_zero_f32 v7, s1, v3
// GFX1250: v_dual_min_num_f32 v255, s105, v2 :: v_dual_mul_dx9_zero_f32 v7, s1, v3 ; encoding: [0x69,0x70,0x2c,0xcf,0x01,0x00,0x02,0x00,0xff,0x03,0x00,0x07]
// W64-ERR: :[[@LINE-2]]:1: error: instruction requires wavesize=32

v_dual_min_num_f32 v255, s1, v2 :: v_dual_mul_dx9_zero_f32 v7, s105, v3
// GFX1250: v_dual_min_num_f32 v255, s1, v2 :: v_dual_mul_dx9_zero_f32 v7, s105, v3 ; encoding: [0x01,0x70,0x2c,0xcf,0x69,0x00,0x02,0x00,0xff,0x03,0x00,0x07]
// W64-ERR: :[[@LINE-2]]:1: error: instruction requires wavesize=32

v_dual_min_num_f32 v255, ttmp15, v2 :: v_dual_mul_dx9_zero_f32 v7, vcc_lo, v3
// GFX1250: v_dual_min_num_f32 v255, ttmp15, v2 :: v_dual_mul_dx9_zero_f32 v7, vcc_lo, v3 ; encoding: [0x7b,0x70,0x2c,0xcf,0x6a,0x00,0x02,0x00,0xff,0x03,0x00,0x07]
// W64-ERR: :[[@LINE-2]]:1: error: instruction requires wavesize=32

v_dual_min_num_f32 v255, exec_hi, v2 :: v_dual_mul_dx9_zero_f32 v7, vcc_hi, v3
// GFX1250: v_dual_min_num_f32 v255, exec_hi, v2 :: v_dual_mul_dx9_zero_f32 v7, vcc_hi, v3 ; encoding: [0x7f,0x70,0x2c,0xcf,0x6b,0x00,0x02,0x00,0xff,0x03,0x00,0x07]
// W64-ERR: :[[@LINE-2]]:1: error: instruction requires wavesize=32

v_dual_min_num_f32 v255, exec_lo, v2 :: v_dual_mul_dx9_zero_f32 v7, ttmp15, v3
// GFX1250: v_dual_min_num_f32 v255, exec_lo, v2 :: v_dual_mul_dx9_zero_f32 v7, ttmp15, v3 ; encoding: [0x7e,0x70,0x2c,0xcf,0x7b,0x00,0x02,0x00,0xff,0x03,0x00,0x07]
// W64-ERR: :[[@LINE-2]]:1: error: instruction requires wavesize=32

v_dual_min_num_f32 v255, m0, v2 :: v_dual_mul_dx9_zero_f32 v7, m0, v3
// GFX1250: v_dual_min_num_f32 v255, m0, v2 :: v_dual_mul_dx9_zero_f32 v7, m0, v3 ; encoding: [0x7d,0x70,0x2c,0xcf,0x7d,0x00,0x02,0x00,0xff,0x03,0x00,0x07]
// W64-ERR: :[[@LINE-2]]:1: error: instruction requires wavesize=32

v_dual_min_num_f32 v255, vcc_hi, v2 :: v_dual_mul_dx9_zero_f32 v7, exec_lo, v3
// GFX1250: v_dual_min_num_f32 v255, vcc_hi, v2 :: v_dual_mul_dx9_zero_f32 v7, exec_lo, v3 ; encoding: [0x6b,0x70,0x2c,0xcf,0x7e,0x00,0x02,0x00,0xff,0x03,0x00,0x07]
// W64-ERR: :[[@LINE-2]]:1: error: instruction requires wavesize=32

v_dual_min_num_f32 v255, vcc_lo, v2 :: v_dual_mul_dx9_zero_f32 v7, exec_hi, v3
// GFX1250: v_dual_min_num_f32 v255, vcc_lo, v2 :: v_dual_mul_dx9_zero_f32 v7, exec_hi, v3 ; encoding: [0x6a,0x70,0x2c,0xcf,0x7f,0x00,0x02,0x00,0xff,0x03,0x00,0x07]
// W64-ERR: :[[@LINE-2]]:1: error: instruction requires wavesize=32

v_dual_min_num_f32 v255, src_scc, v2 :: v_dual_mul_dx9_zero_f32 v7, -1, v3
// GFX1250: v_dual_min_num_f32 v255, src_scc, v2 :: v_dual_mul_dx9_zero_f32 v7, -1, v3 ; encoding: [0xfd,0x70,0x2c,0xcf,0xc1,0x00,0x02,0x00,0xff,0x03,0x00,0x07]
// W64-ERR: :[[@LINE-2]]:1: error: instruction requires wavesize=32

v_dual_min_num_f32 v255, 0.5, v3 :: v_dual_mul_dx9_zero_f32 v7, 0.5, v2
// GFX1250: v_dual_min_num_f32 v255, 0.5, v3 :: v_dual_mul_dx9_zero_f32 v7, 0.5, v2 ; encoding: [0xf0,0x70,0x2c,0xcf,0xf0,0x00,0x03,0x00,0xff,0x02,0x00,0x07]
// W64-ERR: :[[@LINE-2]]:1: error: instruction requires wavesize=32

v_dual_min_num_f32 v255, -1, v4 :: v_dual_mul_dx9_zero_f32 v7, src_scc, v5
// GFX1250: v_dual_min_num_f32 v255, -1, v4 :: v_dual_mul_dx9_zero_f32 v7, src_scc, v5 ; encoding: [0xc1,0x70,0x2c,0xcf,0xfd,0x00,0x04,0x00,0xff,0x05,0x00,0x07]
// W64-ERR: :[[@LINE-2]]:1: error: instruction requires wavesize=32

v_dual_min_num_f32 v255, v4, v2 :: v_dual_mul_f32 v7, v1, v3
// GFX1250: v_dual_min_num_f32 v255, v4, v2 :: v_dual_mul_f32 v7, v1, v3 ; encoding: [0x04,0x31,0x2c,0xcf,0x01,0x01,0x02,0x00,0xff,0x03,0x00,0x07]
// W64-ERR: :[[@LINE-2]]:1: error: instruction requires wavesize=32

v_dual_min_num_f32 v255, v1, v2 :: v_dual_mul_f32 v7, v255, v3
// GFX1250: v_dual_min_num_f32 v255, v1, v2 :: v_dual_mul_f32 v7, v255, v3 ; encoding: [0x01,0x31,0x2c,0xcf,0xff,0x01,0x02,0x00,0xff,0x03,0x00,0x07]
	;; [unrolled: 4-line block ×7, first 2 shown]
// W64-ERR: :[[@LINE-2]]:1: error: instruction requires wavesize=32

v_dual_min_num_f32 v255, ttmp15, v2 :: v_dual_mul_f32 v7, vcc_lo, v3
// GFX1250: v_dual_min_num_f32 v255, ttmp15, v2 :: v_dual_mul_f32 v7, vcc_lo, v3 ; encoding: [0x7b,0x30,0x2c,0xcf,0x6a,0x00,0x02,0x00,0xff,0x03,0x00,0x07]
// W64-ERR: :[[@LINE-2]]:1: error: instruction requires wavesize=32

v_dual_min_num_f32 v255, exec_hi, v2 :: v_dual_mul_f32 v7, vcc_hi, v3
// GFX1250: v_dual_min_num_f32 v255, exec_hi, v2 :: v_dual_mul_f32 v7, vcc_hi, v3 ; encoding: [0x7f,0x30,0x2c,0xcf,0x6b,0x00,0x02,0x00,0xff,0x03,0x00,0x07]
// W64-ERR: :[[@LINE-2]]:1: error: instruction requires wavesize=32

v_dual_min_num_f32 v255, exec_lo, v2 :: v_dual_mul_f32 v7, ttmp15, v3
// GFX1250: v_dual_min_num_f32 v255, exec_lo, v2 :: v_dual_mul_f32 v7, ttmp15, v3 ; encoding: [0x7e,0x30,0x2c,0xcf,0x7b,0x00,0x02,0x00,0xff,0x03,0x00,0x07]
// W64-ERR: :[[@LINE-2]]:1: error: instruction requires wavesize=32

v_dual_min_num_f32 v255, m0, v2 :: v_dual_mul_f32 v7, m0, v3
// GFX1250: v_dual_min_num_f32 v255, m0, v2 :: v_dual_mul_f32 v7, m0, v3 ; encoding: [0x7d,0x30,0x2c,0xcf,0x7d,0x00,0x02,0x00,0xff,0x03,0x00,0x07]
// W64-ERR: :[[@LINE-2]]:1: error: instruction requires wavesize=32

v_dual_min_num_f32 v255, vcc_hi, v2 :: v_dual_mul_f32 v7, exec_lo, v3
// GFX1250: v_dual_min_num_f32 v255, vcc_hi, v2 :: v_dual_mul_f32 v7, exec_lo, v3 ; encoding: [0x6b,0x30,0x2c,0xcf,0x7e,0x00,0x02,0x00,0xff,0x03,0x00,0x07]
// W64-ERR: :[[@LINE-2]]:1: error: instruction requires wavesize=32

v_dual_min_num_f32 v255, vcc_lo, v2 :: v_dual_mul_f32 v7, exec_hi, v3
// GFX1250: v_dual_min_num_f32 v255, vcc_lo, v2 :: v_dual_mul_f32 v7, exec_hi, v3 ; encoding: [0x6a,0x30,0x2c,0xcf,0x7f,0x00,0x02,0x00,0xff,0x03,0x00,0x07]
// W64-ERR: :[[@LINE-2]]:1: error: instruction requires wavesize=32

v_dual_min_num_f32 v255, src_scc, v2 :: v_dual_mul_f32 v7, -1, v3
// GFX1250: v_dual_min_num_f32 v255, src_scc, v2 :: v_dual_mul_f32 v7, -1, v3 ; encoding: [0xfd,0x30,0x2c,0xcf,0xc1,0x00,0x02,0x00,0xff,0x03,0x00,0x07]
// W64-ERR: :[[@LINE-2]]:1: error: instruction requires wavesize=32

v_dual_min_num_f32 v255, 0.5, v3 :: v_dual_mul_f32 v7, 0.5, v2
// GFX1250: v_dual_min_num_f32 v255, 0.5, v3 :: v_dual_mul_f32 v7, 0.5, v2 ; encoding: [0xf0,0x30,0x2c,0xcf,0xf0,0x00,0x03,0x00,0xff,0x02,0x00,0x07]
// W64-ERR: :[[@LINE-2]]:1: error: instruction requires wavesize=32

v_dual_min_num_f32 v255, -1, v4 :: v_dual_mul_f32 v7, src_scc, v5
// GFX1250: v_dual_min_num_f32 v255, -1, v4 :: v_dual_mul_f32 v7, src_scc, v5 ; encoding: [0xc1,0x30,0x2c,0xcf,0xfd,0x00,0x04,0x00,0xff,0x05,0x00,0x07]
// W64-ERR: :[[@LINE-2]]:1: error: instruction requires wavesize=32

v_dual_min_num_f32 v255, v4, v2 :: v_dual_sub_f32 v7, v1, v3
// GFX1250: v_dual_min_num_f32 v255, v4, v2 :: v_dual_sub_f32 v7, v1, v3 ; encoding: [0x04,0x51,0x2c,0xcf,0x01,0x01,0x02,0x00,0xff,0x03,0x00,0x07]
// W64-ERR: :[[@LINE-2]]:1: error: instruction requires wavesize=32

v_dual_min_num_f32 v255, v1, v2 :: v_dual_sub_f32 v7, v255, v3
// GFX1250: v_dual_min_num_f32 v255, v1, v2 :: v_dual_sub_f32 v7, v255, v3 ; encoding: [0x01,0x51,0x2c,0xcf,0xff,0x01,0x02,0x00,0xff,0x03,0x00,0x07]
	;; [unrolled: 4-line block ×7, first 2 shown]
// W64-ERR: :[[@LINE-2]]:1: error: instruction requires wavesize=32

v_dual_min_num_f32 v255, ttmp15, v2 :: v_dual_sub_f32 v7, vcc_lo, v3
// GFX1250: v_dual_min_num_f32 v255, ttmp15, v2 :: v_dual_sub_f32 v7, vcc_lo, v3 ; encoding: [0x7b,0x50,0x2c,0xcf,0x6a,0x00,0x02,0x00,0xff,0x03,0x00,0x07]
// W64-ERR: :[[@LINE-2]]:1: error: instruction requires wavesize=32

v_dual_min_num_f32 v255, exec_hi, v2 :: v_dual_sub_f32 v7, vcc_hi, v3
// GFX1250: v_dual_min_num_f32 v255, exec_hi, v2 :: v_dual_sub_f32 v7, vcc_hi, v3 ; encoding: [0x7f,0x50,0x2c,0xcf,0x6b,0x00,0x02,0x00,0xff,0x03,0x00,0x07]
// W64-ERR: :[[@LINE-2]]:1: error: instruction requires wavesize=32

v_dual_min_num_f32 v255, exec_lo, v2 :: v_dual_sub_f32 v7, ttmp15, v3
// GFX1250: v_dual_min_num_f32 v255, exec_lo, v2 :: v_dual_sub_f32 v7, ttmp15, v3 ; encoding: [0x7e,0x50,0x2c,0xcf,0x7b,0x00,0x02,0x00,0xff,0x03,0x00,0x07]
// W64-ERR: :[[@LINE-2]]:1: error: instruction requires wavesize=32

v_dual_min_num_f32 v255, m0, v2 :: v_dual_sub_f32 v7, m0, v3
// GFX1250: v_dual_min_num_f32 v255, m0, v2 :: v_dual_sub_f32 v7, m0, v3 ; encoding: [0x7d,0x50,0x2c,0xcf,0x7d,0x00,0x02,0x00,0xff,0x03,0x00,0x07]
// W64-ERR: :[[@LINE-2]]:1: error: instruction requires wavesize=32

v_dual_min_num_f32 v255, vcc_hi, v2 :: v_dual_sub_f32 v7, exec_lo, v3
// GFX1250: v_dual_min_num_f32 v255, vcc_hi, v2 :: v_dual_sub_f32 v7, exec_lo, v3 ; encoding: [0x6b,0x50,0x2c,0xcf,0x7e,0x00,0x02,0x00,0xff,0x03,0x00,0x07]
// W64-ERR: :[[@LINE-2]]:1: error: instruction requires wavesize=32

v_dual_min_num_f32 v255, vcc_lo, v2 :: v_dual_sub_f32 v7, exec_hi, v3
// GFX1250: v_dual_min_num_f32 v255, vcc_lo, v2 :: v_dual_sub_f32 v7, exec_hi, v3 ; encoding: [0x6a,0x50,0x2c,0xcf,0x7f,0x00,0x02,0x00,0xff,0x03,0x00,0x07]
// W64-ERR: :[[@LINE-2]]:1: error: instruction requires wavesize=32

v_dual_min_num_f32 v255, src_scc, v2 :: v_dual_sub_f32 v7, -1, v3
// GFX1250: v_dual_min_num_f32 v255, src_scc, v2 :: v_dual_sub_f32 v7, -1, v3 ; encoding: [0xfd,0x50,0x2c,0xcf,0xc1,0x00,0x02,0x00,0xff,0x03,0x00,0x07]
// W64-ERR: :[[@LINE-2]]:1: error: instruction requires wavesize=32

v_dual_min_num_f32 v255, 0.5, v3 :: v_dual_sub_f32 v7, 0.5, v2
// GFX1250: v_dual_min_num_f32 v255, 0.5, v3 :: v_dual_sub_f32 v7, 0.5, v2 ; encoding: [0xf0,0x50,0x2c,0xcf,0xf0,0x00,0x03,0x00,0xff,0x02,0x00,0x07]
// W64-ERR: :[[@LINE-2]]:1: error: instruction requires wavesize=32

v_dual_min_num_f32 v255, -1, v4 :: v_dual_sub_f32 v7, src_scc, v5
// GFX1250: v_dual_min_num_f32 v255, -1, v4 :: v_dual_sub_f32 v7, src_scc, v5 ; encoding: [0xc1,0x50,0x2c,0xcf,0xfd,0x00,0x04,0x00,0xff,0x05,0x00,0x07]
// W64-ERR: :[[@LINE-2]]:1: error: instruction requires wavesize=32

v_dual_min_num_f32 v255, v4, v2 :: v_dual_subrev_f32 v7, v1, v3
// GFX1250: v_dual_min_num_f32 v255, v4, v2 :: v_dual_subrev_f32 v7, v1, v3 ; encoding: [0x04,0x61,0x2c,0xcf,0x01,0x01,0x02,0x00,0xff,0x03,0x00,0x07]
// W64-ERR: :[[@LINE-2]]:1: error: instruction requires wavesize=32

v_dual_min_num_f32 v255, v1, v2 :: v_dual_subrev_f32 v7, v255, v3
// GFX1250: v_dual_min_num_f32 v255, v1, v2 :: v_dual_subrev_f32 v7, v255, v3 ; encoding: [0x01,0x61,0x2c,0xcf,0xff,0x01,0x02,0x00,0xff,0x03,0x00,0x07]
	;; [unrolled: 4-line block ×7, first 2 shown]
// W64-ERR: :[[@LINE-2]]:1: error: instruction requires wavesize=32

v_dual_min_num_f32 v255, ttmp15, v2 :: v_dual_subrev_f32 v7, vcc_lo, v3
// GFX1250: v_dual_min_num_f32 v255, ttmp15, v2 :: v_dual_subrev_f32 v7, vcc_lo, v3 ; encoding: [0x7b,0x60,0x2c,0xcf,0x6a,0x00,0x02,0x00,0xff,0x03,0x00,0x07]
// W64-ERR: :[[@LINE-2]]:1: error: instruction requires wavesize=32

v_dual_min_num_f32 v255, exec_hi, v2 :: v_dual_subrev_f32 v7, vcc_hi, v3
// GFX1250: v_dual_min_num_f32 v255, exec_hi, v2 :: v_dual_subrev_f32 v7, vcc_hi, v3 ; encoding: [0x7f,0x60,0x2c,0xcf,0x6b,0x00,0x02,0x00,0xff,0x03,0x00,0x07]
// W64-ERR: :[[@LINE-2]]:1: error: instruction requires wavesize=32

v_dual_min_num_f32 v255, exec_lo, v2 :: v_dual_subrev_f32 v7, ttmp15, v3
// GFX1250: v_dual_min_num_f32 v255, exec_lo, v2 :: v_dual_subrev_f32 v7, ttmp15, v3 ; encoding: [0x7e,0x60,0x2c,0xcf,0x7b,0x00,0x02,0x00,0xff,0x03,0x00,0x07]
// W64-ERR: :[[@LINE-2]]:1: error: instruction requires wavesize=32

v_dual_min_num_f32 v255, m0, v2 :: v_dual_subrev_f32 v7, m0, v3
// GFX1250: v_dual_min_num_f32 v255, m0, v2 :: v_dual_subrev_f32 v7, m0, v3 ; encoding: [0x7d,0x60,0x2c,0xcf,0x7d,0x00,0x02,0x00,0xff,0x03,0x00,0x07]
// W64-ERR: :[[@LINE-2]]:1: error: instruction requires wavesize=32

v_dual_min_num_f32 v255, vcc_hi, v2 :: v_dual_subrev_f32 v7, exec_lo, v3
// GFX1250: v_dual_min_num_f32 v255, vcc_hi, v2 :: v_dual_subrev_f32 v7, exec_lo, v3 ; encoding: [0x6b,0x60,0x2c,0xcf,0x7e,0x00,0x02,0x00,0xff,0x03,0x00,0x07]
// W64-ERR: :[[@LINE-2]]:1: error: instruction requires wavesize=32

v_dual_min_num_f32 v255, vcc_lo, v2 :: v_dual_subrev_f32 v7, exec_hi, v3
// GFX1250: v_dual_min_num_f32 v255, vcc_lo, v2 :: v_dual_subrev_f32 v7, exec_hi, v3 ; encoding: [0x6a,0x60,0x2c,0xcf,0x7f,0x00,0x02,0x00,0xff,0x03,0x00,0x07]
// W64-ERR: :[[@LINE-2]]:1: error: instruction requires wavesize=32

v_dual_min_num_f32 v255, src_scc, v2 :: v_dual_subrev_f32 v7, -1, v3
// GFX1250: v_dual_min_num_f32 v255, src_scc, v2 :: v_dual_subrev_f32 v7, -1, v3 ; encoding: [0xfd,0x60,0x2c,0xcf,0xc1,0x00,0x02,0x00,0xff,0x03,0x00,0x07]
// W64-ERR: :[[@LINE-2]]:1: error: instruction requires wavesize=32

v_dual_min_num_f32 v255, 0.5, v3 :: v_dual_subrev_f32 v7, 0.5, v2
// GFX1250: v_dual_min_num_f32 v255, 0.5, v3 :: v_dual_subrev_f32 v7, 0.5, v2 ; encoding: [0xf0,0x60,0x2c,0xcf,0xf0,0x00,0x03,0x00,0xff,0x02,0x00,0x07]
// W64-ERR: :[[@LINE-2]]:1: error: instruction requires wavesize=32

v_dual_min_num_f32 v255, -1, v4 :: v_dual_subrev_f32 v7, src_scc, v5
// GFX1250: v_dual_min_num_f32 v255, -1, v4 :: v_dual_subrev_f32 v7, src_scc, v5 ; encoding: [0xc1,0x60,0x2c,0xcf,0xfd,0x00,0x04,0x00,0xff,0x05,0x00,0x07]
// W64-ERR: :[[@LINE-2]]:1: error: instruction requires wavesize=32

v_dual_min_num_f32 v255, v4, v2 :: v_dual_fma_f32 v7, v1, v3, v4
// GFX1250: v_dual_min_num_f32 v255, v4, v2 :: v_dual_fma_f32 v7, v1, v3, v4 ; encoding: [0x04,0x31,0x2d,0xcf,0x01,0x01,0x02,0x00,0xff,0x03,0x04,0x07]
// W64-ERR: :[[@LINE-2]]:1: error: instruction requires wavesize=32

v_dual_min_num_f32 v255, v4, v2 :: v_dual_bitop2_b32 v7, v1, v3 bitop3:255
// GFX1250: v_dual_min_num_f32 v255, v4, v2 :: v_dual_bitop2_b32 v7, v1, v3 bitop3:0xff ; encoding: [0x04,0x21,0x2d,0xcf,0x01,0x01,0x02,0x00,0xff,0x03,0xff,0x07]
// W64-ERR: :[[@LINE-2]]:1: error: instruction requires wavesize=32

v_dual_mov_b32 v255, v4 :: v_dual_add_f32 v7, v1, v255
// GFX1250: v_dual_mov_b32 v255, v4 :: v_dual_add_f32 v7, v1, v255 ; encoding: [0x04,0x41,0x20,0xcf,0x01,0x01,0x00,0x00,0xff,0xff,0x00,0x07]
// W64-ERR: :[[@LINE-2]]:1: error: instruction requires wavesize=32

v_dual_mov_b32 v255, v1 :: v_dual_add_f32 v7, v255, v255
// GFX1250: v_dual_mov_b32 v255, v1 :: v_dual_add_f32 v7, v255, v255 ; encoding: [0x01,0x41,0x20,0xcf,0xff,0x01,0x00,0x00,0xff,0xff,0x00,0x07]
	;; [unrolled: 4-line block ×7, first 2 shown]
// W64-ERR: :[[@LINE-2]]:1: error: instruction requires wavesize=32

v_dual_mov_b32 v255, ttmp15 :: v_dual_add_f32 v7, vcc_lo, v255
// GFX1250: v_dual_mov_b32 v255, ttmp15 :: v_dual_add_f32 v7, vcc_lo, v255 ; encoding: [0x7b,0x40,0x20,0xcf,0x6a,0x00,0x00,0x00,0xff,0xff,0x00,0x07]
// W64-ERR: :[[@LINE-2]]:1: error: instruction requires wavesize=32

v_dual_mov_b32 v255, exec_hi :: v_dual_add_f32 v7, vcc_hi, v255
// GFX1250: v_dual_mov_b32 v255, exec_hi :: v_dual_add_f32 v7, vcc_hi, v255 ; encoding: [0x7f,0x40,0x20,0xcf,0x6b,0x00,0x00,0x00,0xff,0xff,0x00,0x07]
// W64-ERR: :[[@LINE-2]]:1: error: instruction requires wavesize=32

v_dual_mov_b32 v255, exec_lo :: v_dual_add_f32 v7, ttmp15, v255
// GFX1250: v_dual_mov_b32 v255, exec_lo :: v_dual_add_f32 v7, ttmp15, v255 ; encoding: [0x7e,0x40,0x20,0xcf,0x7b,0x00,0x00,0x00,0xff,0xff,0x00,0x07]
// W64-ERR: :[[@LINE-2]]:1: error: instruction requires wavesize=32

v_dual_mov_b32 v255, m0 :: v_dual_add_f32 v7, m0, v255
// GFX1250: v_dual_mov_b32 v255, m0 :: v_dual_add_f32 v7, m0, v255 ; encoding: [0x7d,0x40,0x20,0xcf,0x7d,0x00,0x00,0x00,0xff,0xff,0x00,0x07]
// W64-ERR: :[[@LINE-2]]:1: error: instruction requires wavesize=32

v_dual_mov_b32 v255, vcc_hi :: v_dual_add_f32 v7, exec_lo, v255
// GFX1250: v_dual_mov_b32 v255, vcc_hi :: v_dual_add_f32 v7, exec_lo, v255 ; encoding: [0x6b,0x40,0x20,0xcf,0x7e,0x00,0x00,0x00,0xff,0xff,0x00,0x07]
// W64-ERR: :[[@LINE-2]]:1: error: instruction requires wavesize=32

v_dual_mov_b32 v255, vcc_lo :: v_dual_add_f32 v7, exec_hi, v255
// GFX1250: v_dual_mov_b32 v255, vcc_lo :: v_dual_add_f32 v7, exec_hi, v255 ; encoding: [0x6a,0x40,0x20,0xcf,0x7f,0x00,0x00,0x00,0xff,0xff,0x00,0x07]
// W64-ERR: :[[@LINE-2]]:1: error: instruction requires wavesize=32

v_dual_mov_b32 v255, src_scc :: v_dual_add_f32 v7, -1, v255
// GFX1250: v_dual_mov_b32 v255, src_scc :: v_dual_add_f32 v7, -1, v255 ; encoding: [0xfd,0x40,0x20,0xcf,0xc1,0x00,0x00,0x00,0xff,0xff,0x00,0x07]
// W64-ERR: :[[@LINE-2]]:1: error: instruction requires wavesize=32

v_dual_mov_b32 v255, 0.5 :: v_dual_add_f32 v7, 0.5, v3
// GFX1250: v_dual_mov_b32 v255, 0.5 :: v_dual_add_f32 v7, 0.5, v3 ; encoding: [0xf0,0x40,0x20,0xcf,0xf0,0x00,0x00,0x00,0xff,0x03,0x00,0x07]
// W64-ERR: :[[@LINE-2]]:1: error: instruction requires wavesize=32

v_dual_mov_b32 v255, -1 :: v_dual_add_f32 v7, src_scc, v4
// GFX1250: v_dual_mov_b32 v255, -1 :: v_dual_add_f32 v7, src_scc, v4 ; encoding: [0xc1,0x40,0x20,0xcf,0xfd,0x00,0x00,0x00,0xff,0x04,0x00,0x07]
// W64-ERR: :[[@LINE-2]]:1: error: instruction requires wavesize=32

v_dual_mov_b32 v255, v4 :: v_dual_add_nc_u32 v7, v1, v255
// GFX1250: v_dual_mov_b32 v255, v4 :: v_dual_add_nc_u32 v7, v1, v255 ; encoding: [0x04,0x01,0x21,0xcf,0x01,0x01,0x00,0x00,0xff,0xff,0x00,0x07]
// W64-ERR: :[[@LINE-2]]:1: error: instruction requires wavesize=32

v_dual_mov_b32 v255, v1 :: v_dual_add_nc_u32 v7, v255, v255
// GFX1250: v_dual_mov_b32 v255, v1 :: v_dual_add_nc_u32 v7, v255, v255 ; encoding: [0x01,0x01,0x21,0xcf,0xff,0x01,0x00,0x00,0xff,0xff,0x00,0x07]
// W64-ERR: :[[@LINE-2]]:1: error: instruction requires wavesize=32

v_dual_mov_b32 v255, v255 :: v_dual_add_nc_u32 v7, v2, v255
// GFX1250: v_dual_mov_b32 v255, v255 :: v_dual_add_nc_u32 v7, v2, v255 ; encoding: [0xff,0x01,0x21,0xcf,0x02,0x01,0x00,0x00,0xff,0xff,0x00,0x07]
// W64-ERR: :[[@LINE-2]]:1: error: instruction requires wavesize=32

v_dual_mov_b32 v255, v2 :: v_dual_add_nc_u32 v7, v3, v255
// GFX1250: v_dual_mov_b32 v255, v2 :: v_dual_add_nc_u32 v7, v3, v255 ; encoding: [0x02,0x01,0x21,0xcf,0x03,0x01,0x00,0x00,0xff,0xff,0x00,0x07]
// W64-ERR: :[[@LINE-2]]:1: error: instruction requires wavesize=32

v_dual_mov_b32 v255, v3 :: v_dual_add_nc_u32 v7, v4, v255
// GFX1250: v_dual_mov_b32 v255, v3 :: v_dual_add_nc_u32 v7, v4, v255 ; encoding: [0x03,0x01,0x21,0xcf,0x04,0x01,0x00,0x00,0xff,0xff,0x00,0x07]
// W64-ERR: :[[@LINE-2]]:1: error: instruction requires wavesize=32

v_dual_mov_b32 v255, s105 :: v_dual_add_nc_u32 v7, s1, v255
// GFX1250: v_dual_mov_b32 v255, s105 :: v_dual_add_nc_u32 v7, s1, v255 ; encoding: [0x69,0x00,0x21,0xcf,0x01,0x00,0x00,0x00,0xff,0xff,0x00,0x07]
// W64-ERR: :[[@LINE-2]]:1: error: instruction requires wavesize=32

v_dual_mov_b32 v255, s1 :: v_dual_add_nc_u32 v7, s105, v255
// GFX1250: v_dual_mov_b32 v255, s1 :: v_dual_add_nc_u32 v7, s105, v255 ; encoding: [0x01,0x00,0x21,0xcf,0x69,0x00,0x00,0x00,0xff,0xff,0x00,0x07]
// W64-ERR: :[[@LINE-2]]:1: error: instruction requires wavesize=32

v_dual_mov_b32 v255, ttmp15 :: v_dual_add_nc_u32 v7, vcc_lo, v255
// GFX1250: v_dual_mov_b32 v255, ttmp15 :: v_dual_add_nc_u32 v7, vcc_lo, v255 ; encoding: [0x7b,0x00,0x21,0xcf,0x6a,0x00,0x00,0x00,0xff,0xff,0x00,0x07]
// W64-ERR: :[[@LINE-2]]:1: error: instruction requires wavesize=32

v_dual_mov_b32 v255, exec_hi :: v_dual_add_nc_u32 v7, vcc_hi, v255
// GFX1250: v_dual_mov_b32 v255, exec_hi :: v_dual_add_nc_u32 v7, vcc_hi, v255 ; encoding: [0x7f,0x00,0x21,0xcf,0x6b,0x00,0x00,0x00,0xff,0xff,0x00,0x07]
// W64-ERR: :[[@LINE-2]]:1: error: instruction requires wavesize=32

v_dual_mov_b32 v255, exec_lo :: v_dual_add_nc_u32 v7, ttmp15, v255
// GFX1250: v_dual_mov_b32 v255, exec_lo :: v_dual_add_nc_u32 v7, ttmp15, v255 ; encoding: [0x7e,0x00,0x21,0xcf,0x7b,0x00,0x00,0x00,0xff,0xff,0x00,0x07]
// W64-ERR: :[[@LINE-2]]:1: error: instruction requires wavesize=32

v_dual_mov_b32 v255, m0 :: v_dual_add_nc_u32 v7, m0, v255
// GFX1250: v_dual_mov_b32 v255, m0 :: v_dual_add_nc_u32 v7, m0, v255 ; encoding: [0x7d,0x00,0x21,0xcf,0x7d,0x00,0x00,0x00,0xff,0xff,0x00,0x07]
// W64-ERR: :[[@LINE-2]]:1: error: instruction requires wavesize=32

v_dual_mov_b32 v255, vcc_hi :: v_dual_add_nc_u32 v7, exec_lo, v255
// GFX1250: v_dual_mov_b32 v255, vcc_hi :: v_dual_add_nc_u32 v7, exec_lo, v255 ; encoding: [0x6b,0x00,0x21,0xcf,0x7e,0x00,0x00,0x00,0xff,0xff,0x00,0x07]
// W64-ERR: :[[@LINE-2]]:1: error: instruction requires wavesize=32

v_dual_mov_b32 v255, vcc_lo :: v_dual_add_nc_u32 v7, exec_hi, v255
// GFX1250: v_dual_mov_b32 v255, vcc_lo :: v_dual_add_nc_u32 v7, exec_hi, v255 ; encoding: [0x6a,0x00,0x21,0xcf,0x7f,0x00,0x00,0x00,0xff,0xff,0x00,0x07]
// W64-ERR: :[[@LINE-2]]:1: error: instruction requires wavesize=32

v_dual_mov_b32 v255, src_scc :: v_dual_add_nc_u32 v7, -1, v255
// GFX1250: v_dual_mov_b32 v255, src_scc :: v_dual_add_nc_u32 v7, -1, v255 ; encoding: [0xfd,0x00,0x21,0xcf,0xc1,0x00,0x00,0x00,0xff,0xff,0x00,0x07]
// W64-ERR: :[[@LINE-2]]:1: error: instruction requires wavesize=32

v_dual_mov_b32 v255, 0.5 :: v_dual_add_nc_u32 v7, 0.5, v3
// GFX1250: v_dual_mov_b32 v255, 0.5 :: v_dual_add_nc_u32 v7, 0.5, v3 ; encoding: [0xf0,0x00,0x21,0xcf,0xf0,0x00,0x00,0x00,0xff,0x03,0x00,0x07]
// W64-ERR: :[[@LINE-2]]:1: error: instruction requires wavesize=32

v_dual_mov_b32 v255, -1 :: v_dual_add_nc_u32 v7, src_scc, v4
// GFX1250: v_dual_mov_b32 v255, -1 :: v_dual_add_nc_u32 v7, src_scc, v4 ; encoding: [0xc1,0x00,0x21,0xcf,0xfd,0x00,0x00,0x00,0xff,0x04,0x00,0x07]
// W64-ERR: :[[@LINE-2]]:1: error: instruction requires wavesize=32

v_dual_mov_b32 v255, v4 :: v_dual_cndmask_b32 v7, v1, v255, vcc_lo
// GFX1250: v_dual_mov_b32 v255, v4 :: v_dual_cndmask_b32 v7, v1, v255, vcc_lo ; encoding: [0x04,0x91,0x20,0xcf,0x01,0x01,0x00,0x00,0xff,0xff,0x6a,0x07]
// W64-ERR: :[[@LINE-2]]:1: error: instruction requires wavesize=32

v_dual_mov_b32 v255, v1 :: v_dual_cndmask_b32 v7, v255, v255, vcc_lo
// GFX1250: v_dual_mov_b32 v255, v1 :: v_dual_cndmask_b32 v7, v255, v255, vcc_lo ; encoding: [0x01,0x91,0x20,0xcf,0xff,0x01,0x00,0x00,0xff,0xff,0x6a,0x07]
// W64-ERR: :[[@LINE-2]]:1: error: instruction requires wavesize=32

v_dual_mov_b32 v255, v255 :: v_dual_cndmask_b32 v7, v2, v255, vcc_lo
// GFX1250: v_dual_mov_b32 v255, v255 :: v_dual_cndmask_b32 v7, v2, v255, vcc_lo ; encoding: [0xff,0x91,0x20,0xcf,0x02,0x01,0x00,0x00,0xff,0xff,0x6a,0x07]
// W64-ERR: :[[@LINE-2]]:1: error: instruction requires wavesize=32

v_dual_mov_b32 v255, v2 :: v_dual_cndmask_b32 v7, v3, v255, vcc_lo
// GFX1250: v_dual_mov_b32 v255, v2 :: v_dual_cndmask_b32 v7, v3, v255, vcc_lo ; encoding: [0x02,0x91,0x20,0xcf,0x03,0x01,0x00,0x00,0xff,0xff,0x6a,0x07]
// W64-ERR: :[[@LINE-2]]:1: error: instruction requires wavesize=32

v_dual_mov_b32 v255, v3 :: v_dual_cndmask_b32 v7, v4, v255, vcc_lo
// GFX1250: v_dual_mov_b32 v255, v3 :: v_dual_cndmask_b32 v7, v4, v255, vcc_lo ; encoding: [0x03,0x91,0x20,0xcf,0x04,0x01,0x00,0x00,0xff,0xff,0x6a,0x07]
// W64-ERR: :[[@LINE-2]]:1: error: instruction requires wavesize=32

v_dual_mov_b32 v255, s105 :: v_dual_cndmask_b32 v7, s105, v255, vcc_lo
// GFX1250: v_dual_mov_b32 v255, s105 :: v_dual_cndmask_b32 v7, s105, v255, vcc_lo ; encoding: [0x69,0x90,0x20,0xcf,0x69,0x00,0x00,0x00,0xff,0xff,0x6a,0x07]
// W64-ERR: :[[@LINE-2]]:1: error: instruction requires wavesize=32

v_dual_mov_b32 v255, s1 :: v_dual_cndmask_b32 v7, s1, v255, vcc_lo
// GFX1250: v_dual_mov_b32 v255, s1 :: v_dual_cndmask_b32 v7, s1, v255, vcc_lo ; encoding: [0x01,0x90,0x20,0xcf,0x01,0x00,0x00,0x00,0xff,0xff,0x6a,0x07]
// W64-ERR: :[[@LINE-2]]:1: error: instruction requires wavesize=32

v_dual_mov_b32 v255, ttmp15 :: v_dual_cndmask_b32 v7, ttmp15, v255, vcc_lo
// GFX1250: v_dual_mov_b32 v255, ttmp15 :: v_dual_cndmask_b32 v7, ttmp15, v255, vcc_lo ; encoding: [0x7b,0x90,0x20,0xcf,0x7b,0x00,0x00,0x00,0xff,0xff,0x6a,0x07]
// W64-ERR: :[[@LINE-2]]:1: error: instruction requires wavesize=32

v_dual_mov_b32 v255, exec_hi :: v_dual_cndmask_b32 v7, exec_hi, v255, vcc_lo
// GFX1250: v_dual_mov_b32 v255, exec_hi :: v_dual_cndmask_b32 v7, exec_hi, v255, vcc_lo ; encoding: [0x7f,0x90,0x20,0xcf,0x7f,0x00,0x00,0x00,0xff,0xff,0x6a,0x07]
// W64-ERR: :[[@LINE-2]]:1: error: instruction requires wavesize=32

v_dual_mov_b32 v255, exec_lo :: v_dual_cndmask_b32 v7, exec_lo, v255, vcc_lo
// GFX1250: v_dual_mov_b32 v255, exec_lo :: v_dual_cndmask_b32 v7, exec_lo, v255, vcc_lo ; encoding: [0x7e,0x90,0x20,0xcf,0x7e,0x00,0x00,0x00,0xff,0xff,0x6a,0x07]
// W64-ERR: :[[@LINE-2]]:1: error: instruction requires wavesize=32

v_dual_mov_b32 v255, m0 :: v_dual_cndmask_b32 v7, m0, v255, vcc_lo
// GFX1250: v_dual_mov_b32 v255, m0 :: v_dual_cndmask_b32 v7, m0, v255, vcc_lo ; encoding: [0x7d,0x90,0x20,0xcf,0x7d,0x00,0x00,0x00,0xff,0xff,0x6a,0x07]
// W64-ERR: :[[@LINE-2]]:1: error: instruction requires wavesize=32

v_dual_mov_b32 v255, vcc_hi :: v_dual_cndmask_b32 v7, vcc_hi, v255, vcc_lo
// GFX1250: v_dual_mov_b32 v255, vcc_hi :: v_dual_cndmask_b32 v7, vcc_hi, v255, vcc_lo ; encoding: [0x6b,0x90,0x20,0xcf,0x6b,0x00,0x00,0x00,0xff,0xff,0x6a,0x07]
// W64-ERR: :[[@LINE-2]]:1: error: instruction requires wavesize=32

v_dual_mov_b32 v255, vcc_lo :: v_dual_cndmask_b32 v7, vcc_lo, v255, vcc_lo
// GFX1250: v_dual_mov_b32 v255, vcc_lo :: v_dual_cndmask_b32 v7, vcc_lo, v255, vcc_lo ; encoding: [0x6a,0x90,0x20,0xcf,0x6a,0x00,0x00,0x00,0xff,0xff,0x6a,0x07]
// W64-ERR: :[[@LINE-2]]:1: error: instruction requires wavesize=32

v_dual_mov_b32 v255, src_scc :: v_dual_cndmask_b32 v7, -1, v255, vcc_lo
// GFX1250: v_dual_mov_b32 v255, src_scc :: v_dual_cndmask_b32 v7, -1, v255, vcc_lo ; encoding: [0xfd,0x90,0x20,0xcf,0xc1,0x00,0x00,0x00,0xff,0xff,0x6a,0x07]
// W64-ERR: :[[@LINE-2]]:1: error: instruction requires wavesize=32

v_dual_mov_b32 v255, 0.5 :: v_dual_cndmask_b32 v7, 0.5, v3, vcc_lo
// GFX1250: v_dual_mov_b32 v255, 0.5 :: v_dual_cndmask_b32 v7, 0.5, v3, vcc_lo ; encoding: [0xf0,0x90,0x20,0xcf,0xf0,0x00,0x00,0x00,0xff,0x03,0x6a,0x07]
// W64-ERR: :[[@LINE-2]]:1: error: instruction requires wavesize=32

v_dual_mov_b32 v255, -1 :: v_dual_cndmask_b32 v7, src_scc, v4, vcc_lo
// GFX1250: v_dual_mov_b32 v255, -1 :: v_dual_cndmask_b32 v7, src_scc, v4, vcc_lo ; encoding: [0xc1,0x90,0x20,0xcf,0xfd,0x00,0x00,0x00,0xff,0x04,0x6a,0x07]
// W64-ERR: :[[@LINE-2]]:1: error: instruction requires wavesize=32

v_dual_mov_b32 v255, v4 :: v_dual_fmac_f32 v7, v1, v255
// GFX1250: v_dual_mov_b32 v255, v4 :: v_dual_fmac_f32 v7, v1, v255 ; encoding: [0x04,0x01,0x20,0xcf,0x01,0x01,0x00,0x00,0xff,0xff,0x00,0x07]
// W64-ERR: :[[@LINE-2]]:1: error: instruction requires wavesize=32

v_dual_mov_b32 v255, v1 :: v_dual_fmac_f32 v7, v255, v255
// GFX1250: v_dual_mov_b32 v255, v1 :: v_dual_fmac_f32 v7, v255, v255 ; encoding: [0x01,0x01,0x20,0xcf,0xff,0x01,0x00,0x00,0xff,0xff,0x00,0x07]
	;; [unrolled: 4-line block ×7, first 2 shown]
// W64-ERR: :[[@LINE-2]]:1: error: instruction requires wavesize=32

v_dual_mov_b32 v255, ttmp15 :: v_dual_fmac_f32 v7, vcc_lo, v255
// GFX1250: v_dual_mov_b32 v255, ttmp15 :: v_dual_fmac_f32 v7, vcc_lo, v255 ; encoding: [0x7b,0x00,0x20,0xcf,0x6a,0x00,0x00,0x00,0xff,0xff,0x00,0x07]
// W64-ERR: :[[@LINE-2]]:1: error: instruction requires wavesize=32

v_dual_mov_b32 v255, exec_hi :: v_dual_fmac_f32 v7, vcc_hi, v255
// GFX1250: v_dual_mov_b32 v255, exec_hi :: v_dual_fmac_f32 v7, vcc_hi, v255 ; encoding: [0x7f,0x00,0x20,0xcf,0x6b,0x00,0x00,0x00,0xff,0xff,0x00,0x07]
// W64-ERR: :[[@LINE-2]]:1: error: instruction requires wavesize=32

v_dual_mov_b32 v255, exec_lo :: v_dual_fmac_f32 v7, ttmp15, v255
// GFX1250: v_dual_mov_b32 v255, exec_lo :: v_dual_fmac_f32 v7, ttmp15, v255 ; encoding: [0x7e,0x00,0x20,0xcf,0x7b,0x00,0x00,0x00,0xff,0xff,0x00,0x07]
// W64-ERR: :[[@LINE-2]]:1: error: instruction requires wavesize=32

v_dual_mov_b32 v255, m0 :: v_dual_fmac_f32 v7, m0, v255
// GFX1250: v_dual_mov_b32 v255, m0 :: v_dual_fmac_f32 v7, m0, v255 ; encoding: [0x7d,0x00,0x20,0xcf,0x7d,0x00,0x00,0x00,0xff,0xff,0x00,0x07]
// W64-ERR: :[[@LINE-2]]:1: error: instruction requires wavesize=32

v_dual_mov_b32 v255, vcc_hi :: v_dual_fmac_f32 v7, exec_lo, v255
// GFX1250: v_dual_mov_b32 v255, vcc_hi :: v_dual_fmac_f32 v7, exec_lo, v255 ; encoding: [0x6b,0x00,0x20,0xcf,0x7e,0x00,0x00,0x00,0xff,0xff,0x00,0x07]
// W64-ERR: :[[@LINE-2]]:1: error: instruction requires wavesize=32

v_dual_mov_b32 v255, vcc_lo :: v_dual_fmac_f32 v7, exec_hi, v255
// GFX1250: v_dual_mov_b32 v255, vcc_lo :: v_dual_fmac_f32 v7, exec_hi, v255 ; encoding: [0x6a,0x00,0x20,0xcf,0x7f,0x00,0x00,0x00,0xff,0xff,0x00,0x07]
// W64-ERR: :[[@LINE-2]]:1: error: instruction requires wavesize=32

v_dual_mov_b32 v255, src_scc :: v_dual_fmac_f32 v7, -1, v255
// GFX1250: v_dual_mov_b32 v255, src_scc :: v_dual_fmac_f32 v7, -1, v255 ; encoding: [0xfd,0x00,0x20,0xcf,0xc1,0x00,0x00,0x00,0xff,0xff,0x00,0x07]
// W64-ERR: :[[@LINE-2]]:1: error: instruction requires wavesize=32

v_dual_mov_b32 v255, 0.5 :: v_dual_fmac_f32 v7, 0.5, v3
// GFX1250: v_dual_mov_b32 v255, 0.5 :: v_dual_fmac_f32 v7, 0.5, v3 ; encoding: [0xf0,0x00,0x20,0xcf,0xf0,0x00,0x00,0x00,0xff,0x03,0x00,0x07]
// W64-ERR: :[[@LINE-2]]:1: error: instruction requires wavesize=32

v_dual_mov_b32 v255, -1 :: v_dual_fmac_f32 v7, src_scc, v4
// GFX1250: v_dual_mov_b32 v255, -1 :: v_dual_fmac_f32 v7, src_scc, v4 ; encoding: [0xc1,0x00,0x20,0xcf,0xfd,0x00,0x00,0x00,0xff,0x04,0x00,0x07]
// W64-ERR: :[[@LINE-2]]:1: error: instruction requires wavesize=32

v_dual_mov_b32 v255, v4 :: v_dual_lshlrev_b32 v7, v1, v255
// GFX1250: v_dual_mov_b32 v255, v4 :: v_dual_lshlrev_b32 v7, v1, v255 ; encoding: [0x04,0x11,0x21,0xcf,0x01,0x01,0x00,0x00,0xff,0xff,0x00,0x07]
// W64-ERR: :[[@LINE-2]]:1: error: instruction requires wavesize=32

v_dual_mov_b32 v255, v1 :: v_dual_lshlrev_b32 v7, v255, v255
// GFX1250: v_dual_mov_b32 v255, v1 :: v_dual_lshlrev_b32 v7, v255, v255 ; encoding: [0x01,0x11,0x21,0xcf,0xff,0x01,0x00,0x00,0xff,0xff,0x00,0x07]
	;; [unrolled: 4-line block ×7, first 2 shown]
// W64-ERR: :[[@LINE-2]]:1: error: instruction requires wavesize=32

v_dual_mov_b32 v255, ttmp15 :: v_dual_lshlrev_b32 v7, vcc_lo, v255
// GFX1250: v_dual_mov_b32 v255, ttmp15 :: v_dual_lshlrev_b32 v7, vcc_lo, v255 ; encoding: [0x7b,0x10,0x21,0xcf,0x6a,0x00,0x00,0x00,0xff,0xff,0x00,0x07]
// W64-ERR: :[[@LINE-2]]:1: error: instruction requires wavesize=32

v_dual_mov_b32 v255, exec_hi :: v_dual_lshlrev_b32 v7, vcc_hi, v255
// GFX1250: v_dual_mov_b32 v255, exec_hi :: v_dual_lshlrev_b32 v7, vcc_hi, v255 ; encoding: [0x7f,0x10,0x21,0xcf,0x6b,0x00,0x00,0x00,0xff,0xff,0x00,0x07]
// W64-ERR: :[[@LINE-2]]:1: error: instruction requires wavesize=32

v_dual_mov_b32 v255, exec_lo :: v_dual_lshlrev_b32 v7, ttmp15, v255
// GFX1250: v_dual_mov_b32 v255, exec_lo :: v_dual_lshlrev_b32 v7, ttmp15, v255 ; encoding: [0x7e,0x10,0x21,0xcf,0x7b,0x00,0x00,0x00,0xff,0xff,0x00,0x07]
// W64-ERR: :[[@LINE-2]]:1: error: instruction requires wavesize=32

v_dual_mov_b32 v255, m0 :: v_dual_lshlrev_b32 v7, m0, v255
// GFX1250: v_dual_mov_b32 v255, m0 :: v_dual_lshlrev_b32 v7, m0, v255 ; encoding: [0x7d,0x10,0x21,0xcf,0x7d,0x00,0x00,0x00,0xff,0xff,0x00,0x07]
// W64-ERR: :[[@LINE-2]]:1: error: instruction requires wavesize=32

v_dual_mov_b32 v255, vcc_hi :: v_dual_lshlrev_b32 v7, exec_lo, v255
// GFX1250: v_dual_mov_b32 v255, vcc_hi :: v_dual_lshlrev_b32 v7, exec_lo, v255 ; encoding: [0x6b,0x10,0x21,0xcf,0x7e,0x00,0x00,0x00,0xff,0xff,0x00,0x07]
// W64-ERR: :[[@LINE-2]]:1: error: instruction requires wavesize=32

v_dual_mov_b32 v255, vcc_lo :: v_dual_lshlrev_b32 v7, exec_hi, v255
// GFX1250: v_dual_mov_b32 v255, vcc_lo :: v_dual_lshlrev_b32 v7, exec_hi, v255 ; encoding: [0x6a,0x10,0x21,0xcf,0x7f,0x00,0x00,0x00,0xff,0xff,0x00,0x07]
// W64-ERR: :[[@LINE-2]]:1: error: instruction requires wavesize=32

v_dual_mov_b32 v255, src_scc :: v_dual_lshlrev_b32 v7, -1, v255
// GFX1250: v_dual_mov_b32 v255, src_scc :: v_dual_lshlrev_b32 v7, -1, v255 ; encoding: [0xfd,0x10,0x21,0xcf,0xc1,0x00,0x00,0x00,0xff,0xff,0x00,0x07]
// W64-ERR: :[[@LINE-2]]:1: error: instruction requires wavesize=32

v_dual_mov_b32 v255, 0.5 :: v_dual_lshlrev_b32 v7, 0.5, v3
// GFX1250: v_dual_mov_b32 v255, 0.5 :: v_dual_lshlrev_b32 v7, 0.5, v3 ; encoding: [0xf0,0x10,0x21,0xcf,0xf0,0x00,0x00,0x00,0xff,0x03,0x00,0x07]
// W64-ERR: :[[@LINE-2]]:1: error: instruction requires wavesize=32

v_dual_mov_b32 v255, -1 :: v_dual_lshlrev_b32 v7, src_scc, v4
// GFX1250: v_dual_mov_b32 v255, -1 :: v_dual_lshlrev_b32 v7, src_scc, v4 ; encoding: [0xc1,0x10,0x21,0xcf,0xfd,0x00,0x00,0x00,0xff,0x04,0x00,0x07]
// W64-ERR: :[[@LINE-2]]:1: error: instruction requires wavesize=32

v_dual_mov_b32 v255, v4 :: v_dual_max_num_f32 v7, v1, v255
// GFX1250: v_dual_mov_b32 v255, v4 :: v_dual_max_num_f32 v7, v1, v255 ; encoding: [0x04,0xa1,0x20,0xcf,0x01,0x01,0x00,0x00,0xff,0xff,0x00,0x07]
// W64-ERR: :[[@LINE-2]]:1: error: instruction requires wavesize=32

v_dual_mov_b32 v255, v1 :: v_dual_max_num_f32 v7, v255, v255
// GFX1250: v_dual_mov_b32 v255, v1 :: v_dual_max_num_f32 v7, v255, v255 ; encoding: [0x01,0xa1,0x20,0xcf,0xff,0x01,0x00,0x00,0xff,0xff,0x00,0x07]
	;; [unrolled: 4-line block ×7, first 2 shown]
// W64-ERR: :[[@LINE-2]]:1: error: instruction requires wavesize=32

v_dual_mov_b32 v255, ttmp15 :: v_dual_max_num_f32 v7, vcc_lo, v255
// GFX1250: v_dual_mov_b32 v255, ttmp15 :: v_dual_max_num_f32 v7, vcc_lo, v255 ; encoding: [0x7b,0xa0,0x20,0xcf,0x6a,0x00,0x00,0x00,0xff,0xff,0x00,0x07]
// W64-ERR: :[[@LINE-2]]:1: error: instruction requires wavesize=32

v_dual_mov_b32 v255, exec_hi :: v_dual_max_num_f32 v7, vcc_hi, v255
// GFX1250: v_dual_mov_b32 v255, exec_hi :: v_dual_max_num_f32 v7, vcc_hi, v255 ; encoding: [0x7f,0xa0,0x20,0xcf,0x6b,0x00,0x00,0x00,0xff,0xff,0x00,0x07]
// W64-ERR: :[[@LINE-2]]:1: error: instruction requires wavesize=32

v_dual_mov_b32 v255, exec_lo :: v_dual_max_num_f32 v7, ttmp15, v255
// GFX1250: v_dual_mov_b32 v255, exec_lo :: v_dual_max_num_f32 v7, ttmp15, v255 ; encoding: [0x7e,0xa0,0x20,0xcf,0x7b,0x00,0x00,0x00,0xff,0xff,0x00,0x07]
// W64-ERR: :[[@LINE-2]]:1: error: instruction requires wavesize=32

v_dual_mov_b32 v255, m0 :: v_dual_max_num_f32 v7, m0, v255
// GFX1250: v_dual_mov_b32 v255, m0 :: v_dual_max_num_f32 v7, m0, v255 ; encoding: [0x7d,0xa0,0x20,0xcf,0x7d,0x00,0x00,0x00,0xff,0xff,0x00,0x07]
// W64-ERR: :[[@LINE-2]]:1: error: instruction requires wavesize=32

v_dual_mov_b32 v255, vcc_hi :: v_dual_max_num_f32 v7, exec_lo, v255
// GFX1250: v_dual_mov_b32 v255, vcc_hi :: v_dual_max_num_f32 v7, exec_lo, v255 ; encoding: [0x6b,0xa0,0x20,0xcf,0x7e,0x00,0x00,0x00,0xff,0xff,0x00,0x07]
// W64-ERR: :[[@LINE-2]]:1: error: instruction requires wavesize=32

v_dual_mov_b32 v255, vcc_lo :: v_dual_max_num_f32 v7, exec_hi, v255
// GFX1250: v_dual_mov_b32 v255, vcc_lo :: v_dual_max_num_f32 v7, exec_hi, v255 ; encoding: [0x6a,0xa0,0x20,0xcf,0x7f,0x00,0x00,0x00,0xff,0xff,0x00,0x07]
// W64-ERR: :[[@LINE-2]]:1: error: instruction requires wavesize=32

v_dual_mov_b32 v255, src_scc :: v_dual_max_num_f32 v7, -1, v255
// GFX1250: v_dual_mov_b32 v255, src_scc :: v_dual_max_num_f32 v7, -1, v255 ; encoding: [0xfd,0xa0,0x20,0xcf,0xc1,0x00,0x00,0x00,0xff,0xff,0x00,0x07]
// W64-ERR: :[[@LINE-2]]:1: error: instruction requires wavesize=32

v_dual_mov_b32 v255, 0.5 :: v_dual_max_num_f32 v7, 0.5, v3
// GFX1250: v_dual_mov_b32 v255, 0.5 :: v_dual_max_num_f32 v7, 0.5, v3 ; encoding: [0xf0,0xa0,0x20,0xcf,0xf0,0x00,0x00,0x00,0xff,0x03,0x00,0x07]
// W64-ERR: :[[@LINE-2]]:1: error: instruction requires wavesize=32

v_dual_mov_b32 v255, -1 :: v_dual_max_num_f32 v7, src_scc, v4
// GFX1250: v_dual_mov_b32 v255, -1 :: v_dual_max_num_f32 v7, src_scc, v4 ; encoding: [0xc1,0xa0,0x20,0xcf,0xfd,0x00,0x00,0x00,0xff,0x04,0x00,0x07]
// W64-ERR: :[[@LINE-2]]:1: error: instruction requires wavesize=32

v_dual_mov_b32 v255, v4 :: v_dual_min_num_f32 v7, v1, v255
// GFX1250: v_dual_mov_b32 v255, v4 :: v_dual_min_num_f32 v7, v1, v255 ; encoding: [0x04,0xb1,0x20,0xcf,0x01,0x01,0x00,0x00,0xff,0xff,0x00,0x07]
// W64-ERR: :[[@LINE-2]]:1: error: instruction requires wavesize=32

v_dual_mov_b32 v255, v1 :: v_dual_min_num_f32 v7, v255, v255
// GFX1250: v_dual_mov_b32 v255, v1 :: v_dual_min_num_f32 v7, v255, v255 ; encoding: [0x01,0xb1,0x20,0xcf,0xff,0x01,0x00,0x00,0xff,0xff,0x00,0x07]
	;; [unrolled: 4-line block ×7, first 2 shown]
// W64-ERR: :[[@LINE-2]]:1: error: instruction requires wavesize=32

v_dual_mov_b32 v255, ttmp15 :: v_dual_min_num_f32 v7, vcc_lo, v255
// GFX1250: v_dual_mov_b32 v255, ttmp15 :: v_dual_min_num_f32 v7, vcc_lo, v255 ; encoding: [0x7b,0xb0,0x20,0xcf,0x6a,0x00,0x00,0x00,0xff,0xff,0x00,0x07]
// W64-ERR: :[[@LINE-2]]:1: error: instruction requires wavesize=32

v_dual_mov_b32 v255, exec_hi :: v_dual_min_num_f32 v7, vcc_hi, v255
// GFX1250: v_dual_mov_b32 v255, exec_hi :: v_dual_min_num_f32 v7, vcc_hi, v255 ; encoding: [0x7f,0xb0,0x20,0xcf,0x6b,0x00,0x00,0x00,0xff,0xff,0x00,0x07]
// W64-ERR: :[[@LINE-2]]:1: error: instruction requires wavesize=32

v_dual_mov_b32 v255, exec_lo :: v_dual_min_num_f32 v7, ttmp15, v255
// GFX1250: v_dual_mov_b32 v255, exec_lo :: v_dual_min_num_f32 v7, ttmp15, v255 ; encoding: [0x7e,0xb0,0x20,0xcf,0x7b,0x00,0x00,0x00,0xff,0xff,0x00,0x07]
// W64-ERR: :[[@LINE-2]]:1: error: instruction requires wavesize=32

v_dual_mov_b32 v255, m0 :: v_dual_min_num_f32 v7, m0, v255
// GFX1250: v_dual_mov_b32 v255, m0 :: v_dual_min_num_f32 v7, m0, v255 ; encoding: [0x7d,0xb0,0x20,0xcf,0x7d,0x00,0x00,0x00,0xff,0xff,0x00,0x07]
// W64-ERR: :[[@LINE-2]]:1: error: instruction requires wavesize=32

v_dual_mov_b32 v255, vcc_hi :: v_dual_min_num_f32 v7, exec_lo, v255
// GFX1250: v_dual_mov_b32 v255, vcc_hi :: v_dual_min_num_f32 v7, exec_lo, v255 ; encoding: [0x6b,0xb0,0x20,0xcf,0x7e,0x00,0x00,0x00,0xff,0xff,0x00,0x07]
// W64-ERR: :[[@LINE-2]]:1: error: instruction requires wavesize=32

v_dual_mov_b32 v255, vcc_lo :: v_dual_min_num_f32 v7, exec_hi, v255
// GFX1250: v_dual_mov_b32 v255, vcc_lo :: v_dual_min_num_f32 v7, exec_hi, v255 ; encoding: [0x6a,0xb0,0x20,0xcf,0x7f,0x00,0x00,0x00,0xff,0xff,0x00,0x07]
// W64-ERR: :[[@LINE-2]]:1: error: instruction requires wavesize=32

v_dual_mov_b32 v255, src_scc :: v_dual_min_num_f32 v7, -1, v255
// GFX1250: v_dual_mov_b32 v255, src_scc :: v_dual_min_num_f32 v7, -1, v255 ; encoding: [0xfd,0xb0,0x20,0xcf,0xc1,0x00,0x00,0x00,0xff,0xff,0x00,0x07]
// W64-ERR: :[[@LINE-2]]:1: error: instruction requires wavesize=32

v_dual_mov_b32 v255, 0.5 :: v_dual_min_num_f32 v7, 0.5, v3
// GFX1250: v_dual_mov_b32 v255, 0.5 :: v_dual_min_num_f32 v7, 0.5, v3 ; encoding: [0xf0,0xb0,0x20,0xcf,0xf0,0x00,0x00,0x00,0xff,0x03,0x00,0x07]
// W64-ERR: :[[@LINE-2]]:1: error: instruction requires wavesize=32

v_dual_mov_b32 v255, -1 :: v_dual_min_num_f32 v7, src_scc, v4
// GFX1250: v_dual_mov_b32 v255, -1 :: v_dual_min_num_f32 v7, src_scc, v4 ; encoding: [0xc1,0xb0,0x20,0xcf,0xfd,0x00,0x00,0x00,0xff,0x04,0x00,0x07]
// W64-ERR: :[[@LINE-2]]:1: error: instruction requires wavesize=32

v_dual_mov_b32 v255, v4 :: v_dual_mov_b32 v7, v1
// GFX1250: v_dual_mov_b32 v255, v4 :: v_dual_mov_b32 v7, v1 ; encoding: [0x04,0x81,0x20,0xcf,0x01,0x01,0x00,0x00,0xff,0x00,0x00,0x07]
// W64-ERR: :[[@LINE-2]]:1: error: instruction requires wavesize=32

v_dual_mov_b32 v255, v1 :: v_dual_mov_b32 v7, v255
// GFX1250: v_dual_mov_b32 v255, v1 :: v_dual_mov_b32 v7, v255 ; encoding: [0x01,0x81,0x20,0xcf,0xff,0x01,0x00,0x00,0xff,0x00,0x00,0x07]
	;; [unrolled: 4-line block ×7, first 2 shown]
// W64-ERR: :[[@LINE-2]]:1: error: instruction requires wavesize=32

v_dual_mov_b32 v255, ttmp15 :: v_dual_mov_b32 v7, vcc_lo
// GFX1250: v_dual_mov_b32 v255, ttmp15 :: v_dual_mov_b32 v7, vcc_lo ; encoding: [0x7b,0x80,0x20,0xcf,0x6a,0x00,0x00,0x00,0xff,0x00,0x00,0x07]
// W64-ERR: :[[@LINE-2]]:1: error: instruction requires wavesize=32

v_dual_mov_b32 v255, exec_hi :: v_dual_mov_b32 v7, vcc_hi
// GFX1250: v_dual_mov_b32 v255, exec_hi :: v_dual_mov_b32 v7, vcc_hi ; encoding: [0x7f,0x80,0x20,0xcf,0x6b,0x00,0x00,0x00,0xff,0x00,0x00,0x07]
// W64-ERR: :[[@LINE-2]]:1: error: instruction requires wavesize=32

v_dual_mov_b32 v255, exec_lo :: v_dual_mov_b32 v7, ttmp15
// GFX1250: v_dual_mov_b32 v255, exec_lo :: v_dual_mov_b32 v7, ttmp15 ; encoding: [0x7e,0x80,0x20,0xcf,0x7b,0x00,0x00,0x00,0xff,0x00,0x00,0x07]
// W64-ERR: :[[@LINE-2]]:1: error: instruction requires wavesize=32

v_dual_mov_b32 v255, m0 :: v_dual_mov_b32 v7, m0
// GFX1250: v_dual_mov_b32 v255, m0 :: v_dual_mov_b32 v7, m0 ; encoding: [0x7d,0x80,0x20,0xcf,0x7d,0x00,0x00,0x00,0xff,0x00,0x00,0x07]
// W64-ERR: :[[@LINE-2]]:1: error: instruction requires wavesize=32

v_dual_mov_b32 v255, vcc_hi :: v_dual_mov_b32 v7, exec_lo
// GFX1250: v_dual_mov_b32 v255, vcc_hi :: v_dual_mov_b32 v7, exec_lo ; encoding: [0x6b,0x80,0x20,0xcf,0x7e,0x00,0x00,0x00,0xff,0x00,0x00,0x07]
// W64-ERR: :[[@LINE-2]]:1: error: instruction requires wavesize=32

v_dual_mov_b32 v255, vcc_lo :: v_dual_mov_b32 v7, exec_hi
// GFX1250: v_dual_mov_b32 v255, vcc_lo :: v_dual_mov_b32 v7, exec_hi ; encoding: [0x6a,0x80,0x20,0xcf,0x7f,0x00,0x00,0x00,0xff,0x00,0x00,0x07]
// W64-ERR: :[[@LINE-2]]:1: error: instruction requires wavesize=32

v_dual_mov_b32 v255, src_scc :: v_dual_mov_b32 v7, -1
// GFX1250: v_dual_mov_b32 v255, src_scc :: v_dual_mov_b32 v7, -1 ; encoding: [0xfd,0x80,0x20,0xcf,0xc1,0x00,0x00,0x00,0xff,0x00,0x00,0x07]
// W64-ERR: :[[@LINE-2]]:1: error: instruction requires wavesize=32

v_dual_mov_b32 v255, 0.5 :: v_dual_mov_b32 v7, 0.5
// GFX1250: v_dual_mov_b32 v255, 0.5 :: v_dual_mov_b32 v7, 0.5 ; encoding: [0xf0,0x80,0x20,0xcf,0xf0,0x00,0x00,0x00,0xff,0x00,0x00,0x07]
// W64-ERR: :[[@LINE-2]]:1: error: instruction requires wavesize=32

v_dual_mov_b32 v255, -1 :: v_dual_mov_b32 v7, src_scc
// GFX1250: v_dual_mov_b32 v255, -1 :: v_dual_mov_b32 v7, src_scc ; encoding: [0xc1,0x80,0x20,0xcf,0xfd,0x00,0x00,0x00,0xff,0x00,0x00,0x07]
// W64-ERR: :[[@LINE-2]]:1: error: instruction requires wavesize=32

v_dual_mov_b32 v25, v8 :: v_dual_mov_b32 v13, v16
// GFX1250: v_dual_mov_b32 v25, v8 :: v_dual_mov_b32 v13, v16 ; encoding: [0x08,0x81,0x20,0xcf,0x10,0x01,0x00,0x00,0x19,0x00,0x00,0x0d]
// W64-ERR: :[[@LINE-2]]:1: error: instruction requires wavesize=32

v_dual_mov_b32 v255, v4 :: v_dual_mul_dx9_zero_f32 v7, v1, v255
// GFX1250: v_dual_mov_b32 v255, v4 :: v_dual_mul_dx9_zero_f32 v7, v1, v255 ; encoding: [0x04,0x71,0x20,0xcf,0x01,0x01,0x00,0x00,0xff,0xff,0x00,0x07]
// W64-ERR: :[[@LINE-2]]:1: error: instruction requires wavesize=32

v_dual_mov_b32 v255, v1 :: v_dual_mul_dx9_zero_f32 v7, v255, v255
// GFX1250: v_dual_mov_b32 v255, v1 :: v_dual_mul_dx9_zero_f32 v7, v255, v255 ; encoding: [0x01,0x71,0x20,0xcf,0xff,0x01,0x00,0x00,0xff,0xff,0x00,0x07]
	;; [unrolled: 4-line block ×7, first 2 shown]
// W64-ERR: :[[@LINE-2]]:1: error: instruction requires wavesize=32

v_dual_mov_b32 v255, ttmp15 :: v_dual_mul_dx9_zero_f32 v7, vcc_lo, v255
// GFX1250: v_dual_mov_b32 v255, ttmp15 :: v_dual_mul_dx9_zero_f32 v7, vcc_lo, v255 ; encoding: [0x7b,0x70,0x20,0xcf,0x6a,0x00,0x00,0x00,0xff,0xff,0x00,0x07]
// W64-ERR: :[[@LINE-2]]:1: error: instruction requires wavesize=32

v_dual_mov_b32 v255, exec_hi :: v_dual_mul_dx9_zero_f32 v7, vcc_hi, v255
// GFX1250: v_dual_mov_b32 v255, exec_hi :: v_dual_mul_dx9_zero_f32 v7, vcc_hi, v255 ; encoding: [0x7f,0x70,0x20,0xcf,0x6b,0x00,0x00,0x00,0xff,0xff,0x00,0x07]
// W64-ERR: :[[@LINE-2]]:1: error: instruction requires wavesize=32

v_dual_mov_b32 v255, exec_lo :: v_dual_mul_dx9_zero_f32 v7, ttmp15, v255
// GFX1250: v_dual_mov_b32 v255, exec_lo :: v_dual_mul_dx9_zero_f32 v7, ttmp15, v255 ; encoding: [0x7e,0x70,0x20,0xcf,0x7b,0x00,0x00,0x00,0xff,0xff,0x00,0x07]
// W64-ERR: :[[@LINE-2]]:1: error: instruction requires wavesize=32

v_dual_mov_b32 v255, m0 :: v_dual_mul_dx9_zero_f32 v7, m0, v255
// GFX1250: v_dual_mov_b32 v255, m0 :: v_dual_mul_dx9_zero_f32 v7, m0, v255 ; encoding: [0x7d,0x70,0x20,0xcf,0x7d,0x00,0x00,0x00,0xff,0xff,0x00,0x07]
// W64-ERR: :[[@LINE-2]]:1: error: instruction requires wavesize=32

v_dual_mov_b32 v255, vcc_hi :: v_dual_mul_dx9_zero_f32 v7, exec_lo, v255
// GFX1250: v_dual_mov_b32 v255, vcc_hi :: v_dual_mul_dx9_zero_f32 v7, exec_lo, v255 ; encoding: [0x6b,0x70,0x20,0xcf,0x7e,0x00,0x00,0x00,0xff,0xff,0x00,0x07]
// W64-ERR: :[[@LINE-2]]:1: error: instruction requires wavesize=32

v_dual_mov_b32 v255, vcc_lo :: v_dual_mul_dx9_zero_f32 v7, exec_hi, v255
// GFX1250: v_dual_mov_b32 v255, vcc_lo :: v_dual_mul_dx9_zero_f32 v7, exec_hi, v255 ; encoding: [0x6a,0x70,0x20,0xcf,0x7f,0x00,0x00,0x00,0xff,0xff,0x00,0x07]
// W64-ERR: :[[@LINE-2]]:1: error: instruction requires wavesize=32

v_dual_mov_b32 v255, src_scc :: v_dual_mul_dx9_zero_f32 v7, -1, v255
// GFX1250: v_dual_mov_b32 v255, src_scc :: v_dual_mul_dx9_zero_f32 v7, -1, v255 ; encoding: [0xfd,0x70,0x20,0xcf,0xc1,0x00,0x00,0x00,0xff,0xff,0x00,0x07]
// W64-ERR: :[[@LINE-2]]:1: error: instruction requires wavesize=32

v_dual_mov_b32 v255, 0.5 :: v_dual_mul_dx9_zero_f32 v7, 0.5, v3
// GFX1250: v_dual_mov_b32 v255, 0.5 :: v_dual_mul_dx9_zero_f32 v7, 0.5, v3 ; encoding: [0xf0,0x70,0x20,0xcf,0xf0,0x00,0x00,0x00,0xff,0x03,0x00,0x07]
// W64-ERR: :[[@LINE-2]]:1: error: instruction requires wavesize=32

v_dual_mov_b32 v255, -1 :: v_dual_mul_dx9_zero_f32 v7, src_scc, v4
// GFX1250: v_dual_mov_b32 v255, -1 :: v_dual_mul_dx9_zero_f32 v7, src_scc, v4 ; encoding: [0xc1,0x70,0x20,0xcf,0xfd,0x00,0x00,0x00,0xff,0x04,0x00,0x07]
// W64-ERR: :[[@LINE-2]]:1: error: instruction requires wavesize=32

v_dual_mov_b32 v255, v4 :: v_dual_mul_f32 v7, v1, v255
// GFX1250: v_dual_mov_b32 v255, v4 :: v_dual_mul_f32 v7, v1, v255 ; encoding: [0x04,0x31,0x20,0xcf,0x01,0x01,0x00,0x00,0xff,0xff,0x00,0x07]
// W64-ERR: :[[@LINE-2]]:1: error: instruction requires wavesize=32

v_dual_mov_b32 v255, v1 :: v_dual_mul_f32 v7, v255, v255
// GFX1250: v_dual_mov_b32 v255, v1 :: v_dual_mul_f32 v7, v255, v255 ; encoding: [0x01,0x31,0x20,0xcf,0xff,0x01,0x00,0x00,0xff,0xff,0x00,0x07]
	;; [unrolled: 4-line block ×7, first 2 shown]
// W64-ERR: :[[@LINE-2]]:1: error: instruction requires wavesize=32

v_dual_mov_b32 v255, ttmp15 :: v_dual_mul_f32 v7, vcc_lo, v255
// GFX1250: v_dual_mov_b32 v255, ttmp15 :: v_dual_mul_f32 v7, vcc_lo, v255 ; encoding: [0x7b,0x30,0x20,0xcf,0x6a,0x00,0x00,0x00,0xff,0xff,0x00,0x07]
// W64-ERR: :[[@LINE-2]]:1: error: instruction requires wavesize=32

v_dual_mov_b32 v255, exec_hi :: v_dual_mul_f32 v7, vcc_hi, v255
// GFX1250: v_dual_mov_b32 v255, exec_hi :: v_dual_mul_f32 v7, vcc_hi, v255 ; encoding: [0x7f,0x30,0x20,0xcf,0x6b,0x00,0x00,0x00,0xff,0xff,0x00,0x07]
// W64-ERR: :[[@LINE-2]]:1: error: instruction requires wavesize=32

v_dual_mov_b32 v255, exec_lo :: v_dual_mul_f32 v7, ttmp15, v255
// GFX1250: v_dual_mov_b32 v255, exec_lo :: v_dual_mul_f32 v7, ttmp15, v255 ; encoding: [0x7e,0x30,0x20,0xcf,0x7b,0x00,0x00,0x00,0xff,0xff,0x00,0x07]
// W64-ERR: :[[@LINE-2]]:1: error: instruction requires wavesize=32

v_dual_mov_b32 v255, m0 :: v_dual_mul_f32 v7, m0, v255
// GFX1250: v_dual_mov_b32 v255, m0 :: v_dual_mul_f32 v7, m0, v255 ; encoding: [0x7d,0x30,0x20,0xcf,0x7d,0x00,0x00,0x00,0xff,0xff,0x00,0x07]
// W64-ERR: :[[@LINE-2]]:1: error: instruction requires wavesize=32

v_dual_mov_b32 v255, vcc_hi :: v_dual_mul_f32 v7, exec_lo, v255
// GFX1250: v_dual_mov_b32 v255, vcc_hi :: v_dual_mul_f32 v7, exec_lo, v255 ; encoding: [0x6b,0x30,0x20,0xcf,0x7e,0x00,0x00,0x00,0xff,0xff,0x00,0x07]
// W64-ERR: :[[@LINE-2]]:1: error: instruction requires wavesize=32

v_dual_mov_b32 v255, vcc_lo :: v_dual_mul_f32 v7, exec_hi, v255
// GFX1250: v_dual_mov_b32 v255, vcc_lo :: v_dual_mul_f32 v7, exec_hi, v255 ; encoding: [0x6a,0x30,0x20,0xcf,0x7f,0x00,0x00,0x00,0xff,0xff,0x00,0x07]
// W64-ERR: :[[@LINE-2]]:1: error: instruction requires wavesize=32

v_dual_mov_b32 v255, src_scc :: v_dual_mul_f32 v7, -1, v255
// GFX1250: v_dual_mov_b32 v255, src_scc :: v_dual_mul_f32 v7, -1, v255 ; encoding: [0xfd,0x30,0x20,0xcf,0xc1,0x00,0x00,0x00,0xff,0xff,0x00,0x07]
// W64-ERR: :[[@LINE-2]]:1: error: instruction requires wavesize=32

v_dual_mov_b32 v255, 0.5 :: v_dual_mul_f32 v7, 0.5, v3
// GFX1250: v_dual_mov_b32 v255, 0.5 :: v_dual_mul_f32 v7, 0.5, v3 ; encoding: [0xf0,0x30,0x20,0xcf,0xf0,0x00,0x00,0x00,0xff,0x03,0x00,0x07]
// W64-ERR: :[[@LINE-2]]:1: error: instruction requires wavesize=32

v_dual_mov_b32 v255, -1 :: v_dual_mul_f32 v7, src_scc, v4
// GFX1250: v_dual_mov_b32 v255, -1 :: v_dual_mul_f32 v7, src_scc, v4 ; encoding: [0xc1,0x30,0x20,0xcf,0xfd,0x00,0x00,0x00,0xff,0x04,0x00,0x07]
// W64-ERR: :[[@LINE-2]]:1: error: instruction requires wavesize=32

v_dual_mov_b32 v255, v4 :: v_dual_sub_f32 v7, v1, v255
// GFX1250: v_dual_mov_b32 v255, v4 :: v_dual_sub_f32 v7, v1, v255 ; encoding: [0x04,0x51,0x20,0xcf,0x01,0x01,0x00,0x00,0xff,0xff,0x00,0x07]
// W64-ERR: :[[@LINE-2]]:1: error: instruction requires wavesize=32

v_dual_mov_b32 v255, v1 :: v_dual_sub_f32 v7, v255, v255
// GFX1250: v_dual_mov_b32 v255, v1 :: v_dual_sub_f32 v7, v255, v255 ; encoding: [0x01,0x51,0x20,0xcf,0xff,0x01,0x00,0x00,0xff,0xff,0x00,0x07]
	;; [unrolled: 4-line block ×7, first 2 shown]
// W64-ERR: :[[@LINE-2]]:1: error: instruction requires wavesize=32

v_dual_mov_b32 v255, ttmp15 :: v_dual_sub_f32 v7, vcc_lo, v255
// GFX1250: v_dual_mov_b32 v255, ttmp15 :: v_dual_sub_f32 v7, vcc_lo, v255 ; encoding: [0x7b,0x50,0x20,0xcf,0x6a,0x00,0x00,0x00,0xff,0xff,0x00,0x07]
// W64-ERR: :[[@LINE-2]]:1: error: instruction requires wavesize=32

v_dual_mov_b32 v255, exec_hi :: v_dual_sub_f32 v7, vcc_hi, v255
// GFX1250: v_dual_mov_b32 v255, exec_hi :: v_dual_sub_f32 v7, vcc_hi, v255 ; encoding: [0x7f,0x50,0x20,0xcf,0x6b,0x00,0x00,0x00,0xff,0xff,0x00,0x07]
// W64-ERR: :[[@LINE-2]]:1: error: instruction requires wavesize=32

v_dual_mov_b32 v255, exec_lo :: v_dual_sub_f32 v7, ttmp15, v255
// GFX1250: v_dual_mov_b32 v255, exec_lo :: v_dual_sub_f32 v7, ttmp15, v255 ; encoding: [0x7e,0x50,0x20,0xcf,0x7b,0x00,0x00,0x00,0xff,0xff,0x00,0x07]
// W64-ERR: :[[@LINE-2]]:1: error: instruction requires wavesize=32

v_dual_mov_b32 v255, m0 :: v_dual_sub_f32 v7, m0, v255
// GFX1250: v_dual_mov_b32 v255, m0 :: v_dual_sub_f32 v7, m0, v255 ; encoding: [0x7d,0x50,0x20,0xcf,0x7d,0x00,0x00,0x00,0xff,0xff,0x00,0x07]
// W64-ERR: :[[@LINE-2]]:1: error: instruction requires wavesize=32

v_dual_mov_b32 v255, vcc_hi :: v_dual_sub_f32 v7, exec_lo, v255
// GFX1250: v_dual_mov_b32 v255, vcc_hi :: v_dual_sub_f32 v7, exec_lo, v255 ; encoding: [0x6b,0x50,0x20,0xcf,0x7e,0x00,0x00,0x00,0xff,0xff,0x00,0x07]
// W64-ERR: :[[@LINE-2]]:1: error: instruction requires wavesize=32

v_dual_mov_b32 v255, vcc_lo :: v_dual_sub_f32 v7, exec_hi, v255
// GFX1250: v_dual_mov_b32 v255, vcc_lo :: v_dual_sub_f32 v7, exec_hi, v255 ; encoding: [0x6a,0x50,0x20,0xcf,0x7f,0x00,0x00,0x00,0xff,0xff,0x00,0x07]
// W64-ERR: :[[@LINE-2]]:1: error: instruction requires wavesize=32

v_dual_mov_b32 v255, src_scc :: v_dual_sub_f32 v7, -1, v255
// GFX1250: v_dual_mov_b32 v255, src_scc :: v_dual_sub_f32 v7, -1, v255 ; encoding: [0xfd,0x50,0x20,0xcf,0xc1,0x00,0x00,0x00,0xff,0xff,0x00,0x07]
// W64-ERR: :[[@LINE-2]]:1: error: instruction requires wavesize=32

v_dual_mov_b32 v255, 0.5 :: v_dual_sub_f32 v7, 0.5, v3
// GFX1250: v_dual_mov_b32 v255, 0.5 :: v_dual_sub_f32 v7, 0.5, v3 ; encoding: [0xf0,0x50,0x20,0xcf,0xf0,0x00,0x00,0x00,0xff,0x03,0x00,0x07]
// W64-ERR: :[[@LINE-2]]:1: error: instruction requires wavesize=32

v_dual_mov_b32 v255, -1 :: v_dual_sub_f32 v7, src_scc, v4
// GFX1250: v_dual_mov_b32 v255, -1 :: v_dual_sub_f32 v7, src_scc, v4 ; encoding: [0xc1,0x50,0x20,0xcf,0xfd,0x00,0x00,0x00,0xff,0x04,0x00,0x07]
// W64-ERR: :[[@LINE-2]]:1: error: instruction requires wavesize=32

v_dual_mov_b32 v255, v4 :: v_dual_subrev_f32 v7, v1, v255
// GFX1250: v_dual_mov_b32 v255, v4 :: v_dual_subrev_f32 v7, v1, v255 ; encoding: [0x04,0x61,0x20,0xcf,0x01,0x01,0x00,0x00,0xff,0xff,0x00,0x07]
// W64-ERR: :[[@LINE-2]]:1: error: instruction requires wavesize=32

v_dual_mov_b32 v255, v1 :: v_dual_subrev_f32 v7, v255, v255
// GFX1250: v_dual_mov_b32 v255, v1 :: v_dual_subrev_f32 v7, v255, v255 ; encoding: [0x01,0x61,0x20,0xcf,0xff,0x01,0x00,0x00,0xff,0xff,0x00,0x07]
	;; [unrolled: 4-line block ×7, first 2 shown]
// W64-ERR: :[[@LINE-2]]:1: error: instruction requires wavesize=32

v_dual_mov_b32 v255, ttmp15 :: v_dual_subrev_f32 v7, vcc_lo, v255
// GFX1250: v_dual_mov_b32 v255, ttmp15 :: v_dual_subrev_f32 v7, vcc_lo, v255 ; encoding: [0x7b,0x60,0x20,0xcf,0x6a,0x00,0x00,0x00,0xff,0xff,0x00,0x07]
// W64-ERR: :[[@LINE-2]]:1: error: instruction requires wavesize=32

v_dual_mov_b32 v255, exec_hi :: v_dual_subrev_f32 v7, vcc_hi, v255
// GFX1250: v_dual_mov_b32 v255, exec_hi :: v_dual_subrev_f32 v7, vcc_hi, v255 ; encoding: [0x7f,0x60,0x20,0xcf,0x6b,0x00,0x00,0x00,0xff,0xff,0x00,0x07]
// W64-ERR: :[[@LINE-2]]:1: error: instruction requires wavesize=32

v_dual_mov_b32 v255, exec_lo :: v_dual_subrev_f32 v7, ttmp15, v255
// GFX1250: v_dual_mov_b32 v255, exec_lo :: v_dual_subrev_f32 v7, ttmp15, v255 ; encoding: [0x7e,0x60,0x20,0xcf,0x7b,0x00,0x00,0x00,0xff,0xff,0x00,0x07]
// W64-ERR: :[[@LINE-2]]:1: error: instruction requires wavesize=32

v_dual_mov_b32 v255, m0 :: v_dual_subrev_f32 v7, m0, v255
// GFX1250: v_dual_mov_b32 v255, m0 :: v_dual_subrev_f32 v7, m0, v255 ; encoding: [0x7d,0x60,0x20,0xcf,0x7d,0x00,0x00,0x00,0xff,0xff,0x00,0x07]
// W64-ERR: :[[@LINE-2]]:1: error: instruction requires wavesize=32

v_dual_mov_b32 v255, vcc_hi :: v_dual_subrev_f32 v7, exec_lo, v255
// GFX1250: v_dual_mov_b32 v255, vcc_hi :: v_dual_subrev_f32 v7, exec_lo, v255 ; encoding: [0x6b,0x60,0x20,0xcf,0x7e,0x00,0x00,0x00,0xff,0xff,0x00,0x07]
// W64-ERR: :[[@LINE-2]]:1: error: instruction requires wavesize=32

v_dual_mov_b32 v255, vcc_lo :: v_dual_subrev_f32 v7, exec_hi, v255
// GFX1250: v_dual_mov_b32 v255, vcc_lo :: v_dual_subrev_f32 v7, exec_hi, v255 ; encoding: [0x6a,0x60,0x20,0xcf,0x7f,0x00,0x00,0x00,0xff,0xff,0x00,0x07]
// W64-ERR: :[[@LINE-2]]:1: error: instruction requires wavesize=32

v_dual_mov_b32 v255, src_scc :: v_dual_subrev_f32 v7, -1, v255
// GFX1250: v_dual_mov_b32 v255, src_scc :: v_dual_subrev_f32 v7, -1, v255 ; encoding: [0xfd,0x60,0x20,0xcf,0xc1,0x00,0x00,0x00,0xff,0xff,0x00,0x07]
// W64-ERR: :[[@LINE-2]]:1: error: instruction requires wavesize=32

v_dual_mov_b32 v255, 0.5 :: v_dual_subrev_f32 v7, 0.5, v3
// GFX1250: v_dual_mov_b32 v255, 0.5 :: v_dual_subrev_f32 v7, 0.5, v3 ; encoding: [0xf0,0x60,0x20,0xcf,0xf0,0x00,0x00,0x00,0xff,0x03,0x00,0x07]
// W64-ERR: :[[@LINE-2]]:1: error: instruction requires wavesize=32

v_dual_mov_b32 v255, -1 :: v_dual_subrev_f32 v7, src_scc, v4
// GFX1250: v_dual_mov_b32 v255, -1 :: v_dual_subrev_f32 v7, src_scc, v4 ; encoding: [0xc1,0x60,0x20,0xcf,0xfd,0x00,0x00,0x00,0xff,0x04,0x00,0x07]
// W64-ERR: :[[@LINE-2]]:1: error: instruction requires wavesize=32

v_dual_mov_b32 v255, v4 :: v_dual_fma_f32 v7, v1, v3, v4
// GFX1250: v_dual_mov_b32 v255, v4 :: v_dual_fma_f32 v7, v1, v3, v4 ; encoding: [0x04,0x31,0x21,0xcf,0x01,0x01,0x00,0x00,0xff,0x03,0x04,0x07]
// W64-ERR: :[[@LINE-2]]:1: error: instruction requires wavesize=32

v_dual_mov_b32 v255, v4 :: v_dual_bitop2_b32 v7, v1, v3 bitop3:254
// GFX1250: v_dual_mov_b32 v255, v4 :: v_dual_bitop2_b32 v7, v1, v3 bitop3:0xfe ; encoding: [0x04,0x21,0x21,0xcf,0x01,0x01,0x00,0x00,0xff,0x03,0xfe,0x07]
// W64-ERR: :[[@LINE-2]]:1: error: instruction requires wavesize=32

v_dual_mul_dx9_zero_f32 v255, v4, v2 :: v_dual_add_f32 v7, v1, v3
// GFX1250: v_dual_mul_dx9_zero_f32 v255, v4, v2 :: v_dual_add_f32 v7, v1, v3 ; encoding: [0x04,0x41,0x1c,0xcf,0x01,0x01,0x02,0x00,0xff,0x03,0x00,0x07]
// W64-ERR: :[[@LINE-2]]:1: error: instruction requires wavesize=32

v_dual_mul_dx9_zero_f32 v255, v1, v2 :: v_dual_add_f32 v7, v255, v3
// GFX1250: v_dual_mul_dx9_zero_f32 v255, v1, v2 :: v_dual_add_f32 v7, v255, v3 ; encoding: [0x01,0x41,0x1c,0xcf,0xff,0x01,0x02,0x00,0xff,0x03,0x00,0x07]
	;; [unrolled: 4-line block ×7, first 2 shown]
// W64-ERR: :[[@LINE-2]]:1: error: instruction requires wavesize=32

v_dual_mul_dx9_zero_f32 v255, ttmp15, v2 :: v_dual_add_f32 v7, vcc_lo, v3
// GFX1250: v_dual_mul_dx9_zero_f32 v255, ttmp15, v2 :: v_dual_add_f32 v7, vcc_lo, v3 ; encoding: [0x7b,0x40,0x1c,0xcf,0x6a,0x00,0x02,0x00,0xff,0x03,0x00,0x07]
// W64-ERR: :[[@LINE-2]]:1: error: instruction requires wavesize=32

v_dual_mul_dx9_zero_f32 v255, exec_hi, v2 :: v_dual_add_f32 v7, vcc_hi, v3
// GFX1250: v_dual_mul_dx9_zero_f32 v255, exec_hi, v2 :: v_dual_add_f32 v7, vcc_hi, v3 ; encoding: [0x7f,0x40,0x1c,0xcf,0x6b,0x00,0x02,0x00,0xff,0x03,0x00,0x07]
// W64-ERR: :[[@LINE-2]]:1: error: instruction requires wavesize=32

v_dual_mul_dx9_zero_f32 v255, exec_lo, v2 :: v_dual_add_f32 v7, ttmp15, v3
// GFX1250: v_dual_mul_dx9_zero_f32 v255, exec_lo, v2 :: v_dual_add_f32 v7, ttmp15, v3 ; encoding: [0x7e,0x40,0x1c,0xcf,0x7b,0x00,0x02,0x00,0xff,0x03,0x00,0x07]
// W64-ERR: :[[@LINE-2]]:1: error: instruction requires wavesize=32

v_dual_mul_dx9_zero_f32 v255, m0, v2 :: v_dual_add_f32 v7, m0, v3
// GFX1250: v_dual_mul_dx9_zero_f32 v255, m0, v2 :: v_dual_add_f32 v7, m0, v3 ; encoding: [0x7d,0x40,0x1c,0xcf,0x7d,0x00,0x02,0x00,0xff,0x03,0x00,0x07]
// W64-ERR: :[[@LINE-2]]:1: error: instruction requires wavesize=32

v_dual_mul_dx9_zero_f32 v255, vcc_hi, v2 :: v_dual_add_f32 v7, exec_lo, v3
// GFX1250: v_dual_mul_dx9_zero_f32 v255, vcc_hi, v2 :: v_dual_add_f32 v7, exec_lo, v3 ; encoding: [0x6b,0x40,0x1c,0xcf,0x7e,0x00,0x02,0x00,0xff,0x03,0x00,0x07]
// W64-ERR: :[[@LINE-2]]:1: error: instruction requires wavesize=32

v_dual_mul_dx9_zero_f32 v255, vcc_lo, v2 :: v_dual_add_f32 v7, exec_hi, v3
// GFX1250: v_dual_mul_dx9_zero_f32 v255, vcc_lo, v2 :: v_dual_add_f32 v7, exec_hi, v3 ; encoding: [0x6a,0x40,0x1c,0xcf,0x7f,0x00,0x02,0x00,0xff,0x03,0x00,0x07]
// W64-ERR: :[[@LINE-2]]:1: error: instruction requires wavesize=32

v_dual_mul_dx9_zero_f32 v255, src_scc, v2 :: v_dual_add_f32 v7, -1, v3
// GFX1250: v_dual_mul_dx9_zero_f32 v255, src_scc, v2 :: v_dual_add_f32 v7, -1, v3 ; encoding: [0xfd,0x40,0x1c,0xcf,0xc1,0x00,0x02,0x00,0xff,0x03,0x00,0x07]
// W64-ERR: :[[@LINE-2]]:1: error: instruction requires wavesize=32

v_dual_mul_dx9_zero_f32 v255, 0.5, v3 :: v_dual_add_f32 v7, 0.5, v2
// GFX1250: v_dual_mul_dx9_zero_f32 v255, 0.5, v3 :: v_dual_add_f32 v7, 0.5, v2 ; encoding: [0xf0,0x40,0x1c,0xcf,0xf0,0x00,0x03,0x00,0xff,0x02,0x00,0x07]
// W64-ERR: :[[@LINE-2]]:1: error: instruction requires wavesize=32

v_dual_mul_dx9_zero_f32 v255, -1, v4 :: v_dual_add_f32 v7, src_scc, v5
// GFX1250: v_dual_mul_dx9_zero_f32 v255, -1, v4 :: v_dual_add_f32 v7, src_scc, v5 ; encoding: [0xc1,0x40,0x1c,0xcf,0xfd,0x00,0x04,0x00,0xff,0x05,0x00,0x07]
// W64-ERR: :[[@LINE-2]]:1: error: instruction requires wavesize=32

v_dual_mul_dx9_zero_f32 v255, v4, v2 :: v_dual_add_nc_u32 v7, v1, v3
// GFX1250: v_dual_mul_dx9_zero_f32 v255, v4, v2 :: v_dual_add_nc_u32 v7, v1, v3 ; encoding: [0x04,0x01,0x1d,0xcf,0x01,0x01,0x02,0x00,0xff,0x03,0x00,0x07]
// W64-ERR: :[[@LINE-2]]:1: error: instruction requires wavesize=32

v_dual_mul_dx9_zero_f32 v255, v1, v2 :: v_dual_add_nc_u32 v7, v255, v3
// GFX1250: v_dual_mul_dx9_zero_f32 v255, v1, v2 :: v_dual_add_nc_u32 v7, v255, v3 ; encoding: [0x01,0x01,0x1d,0xcf,0xff,0x01,0x02,0x00,0xff,0x03,0x00,0x07]
	;; [unrolled: 4-line block ×7, first 2 shown]
// W64-ERR: :[[@LINE-2]]:1: error: instruction requires wavesize=32

v_dual_mul_dx9_zero_f32 v255, ttmp15, v2 :: v_dual_add_nc_u32 v7, vcc_lo, v3
// GFX1250: v_dual_mul_dx9_zero_f32 v255, ttmp15, v2 :: v_dual_add_nc_u32 v7, vcc_lo, v3 ; encoding: [0x7b,0x00,0x1d,0xcf,0x6a,0x00,0x02,0x00,0xff,0x03,0x00,0x07]
// W64-ERR: :[[@LINE-2]]:1: error: instruction requires wavesize=32

v_dual_mul_dx9_zero_f32 v255, exec_hi, v2 :: v_dual_add_nc_u32 v7, vcc_hi, v3
// GFX1250: v_dual_mul_dx9_zero_f32 v255, exec_hi, v2 :: v_dual_add_nc_u32 v7, vcc_hi, v3 ; encoding: [0x7f,0x00,0x1d,0xcf,0x6b,0x00,0x02,0x00,0xff,0x03,0x00,0x07]
// W64-ERR: :[[@LINE-2]]:1: error: instruction requires wavesize=32

v_dual_mul_dx9_zero_f32 v255, exec_lo, v2 :: v_dual_add_nc_u32 v7, ttmp15, v3
// GFX1250: v_dual_mul_dx9_zero_f32 v255, exec_lo, v2 :: v_dual_add_nc_u32 v7, ttmp15, v3 ; encoding: [0x7e,0x00,0x1d,0xcf,0x7b,0x00,0x02,0x00,0xff,0x03,0x00,0x07]
// W64-ERR: :[[@LINE-2]]:1: error: instruction requires wavesize=32

v_dual_mul_dx9_zero_f32 v255, m0, v2 :: v_dual_add_nc_u32 v7, m0, v3
// GFX1250: v_dual_mul_dx9_zero_f32 v255, m0, v2 :: v_dual_add_nc_u32 v7, m0, v3 ; encoding: [0x7d,0x00,0x1d,0xcf,0x7d,0x00,0x02,0x00,0xff,0x03,0x00,0x07]
// W64-ERR: :[[@LINE-2]]:1: error: instruction requires wavesize=32

v_dual_mul_dx9_zero_f32 v255, vcc_hi, v2 :: v_dual_add_nc_u32 v7, exec_lo, v3
// GFX1250: v_dual_mul_dx9_zero_f32 v255, vcc_hi, v2 :: v_dual_add_nc_u32 v7, exec_lo, v3 ; encoding: [0x6b,0x00,0x1d,0xcf,0x7e,0x00,0x02,0x00,0xff,0x03,0x00,0x07]
// W64-ERR: :[[@LINE-2]]:1: error: instruction requires wavesize=32

v_dual_mul_dx9_zero_f32 v255, vcc_lo, v2 :: v_dual_add_nc_u32 v7, exec_hi, v3
// GFX1250: v_dual_mul_dx9_zero_f32 v255, vcc_lo, v2 :: v_dual_add_nc_u32 v7, exec_hi, v3 ; encoding: [0x6a,0x00,0x1d,0xcf,0x7f,0x00,0x02,0x00,0xff,0x03,0x00,0x07]
// W64-ERR: :[[@LINE-2]]:1: error: instruction requires wavesize=32

v_dual_mul_dx9_zero_f32 v255, src_scc, v2 :: v_dual_add_nc_u32 v7, -1, v3
// GFX1250: v_dual_mul_dx9_zero_f32 v255, src_scc, v2 :: v_dual_add_nc_u32 v7, -1, v3 ; encoding: [0xfd,0x00,0x1d,0xcf,0xc1,0x00,0x02,0x00,0xff,0x03,0x00,0x07]
// W64-ERR: :[[@LINE-2]]:1: error: instruction requires wavesize=32

v_dual_mul_dx9_zero_f32 v255, 0.5, v3 :: v_dual_add_nc_u32 v7, 0.5, v2
// GFX1250: v_dual_mul_dx9_zero_f32 v255, 0.5, v3 :: v_dual_add_nc_u32 v7, 0.5, v2 ; encoding: [0xf0,0x00,0x1d,0xcf,0xf0,0x00,0x03,0x00,0xff,0x02,0x00,0x07]
// W64-ERR: :[[@LINE-2]]:1: error: instruction requires wavesize=32

v_dual_mul_dx9_zero_f32 v255, -1, v4 :: v_dual_add_nc_u32 v7, src_scc, v5
// GFX1250: v_dual_mul_dx9_zero_f32 v255, -1, v4 :: v_dual_add_nc_u32 v7, src_scc, v5 ; encoding: [0xc1,0x00,0x1d,0xcf,0xfd,0x00,0x04,0x00,0xff,0x05,0x00,0x07]
// W64-ERR: :[[@LINE-2]]:1: error: instruction requires wavesize=32

v_dual_mul_dx9_zero_f32 v255, v4, v2 :: v_dual_cndmask_b32 v7, v1, v3, vcc_lo
// GFX1250: v_dual_mul_dx9_zero_f32 v255, v4, v2 :: v_dual_cndmask_b32 v7, v1, v3, vcc_lo ; encoding: [0x04,0x91,0x1c,0xcf,0x01,0x01,0x02,0x00,0xff,0x03,0x6a,0x07]
// W64-ERR: :[[@LINE-2]]:1: error: instruction requires wavesize=32

v_dual_mul_dx9_zero_f32 v255, v1, v2 :: v_dual_cndmask_b32 v7, v255, v3, vcc_lo
// GFX1250: v_dual_mul_dx9_zero_f32 v255, v1, v2 :: v_dual_cndmask_b32 v7, v255, v3, vcc_lo ; encoding: [0x01,0x91,0x1c,0xcf,0xff,0x01,0x02,0x00,0xff,0x03,0x6a,0x07]
	;; [unrolled: 4-line block ×7, first 2 shown]
// W64-ERR: :[[@LINE-2]]:1: error: instruction requires wavesize=32

v_dual_mul_dx9_zero_f32 v255, ttmp15, v2 :: v_dual_cndmask_b32 v7, ttmp15, v3, vcc_lo
// GFX1250: v_dual_mul_dx9_zero_f32 v255, ttmp15, v2 :: v_dual_cndmask_b32 v7, ttmp15, v3, vcc_lo ; encoding: [0x7b,0x90,0x1c,0xcf,0x7b,0x00,0x02,0x00,0xff,0x03,0x6a,0x07]
// W64-ERR: :[[@LINE-2]]:1: error: instruction requires wavesize=32

v_dual_mul_dx9_zero_f32 v255, exec_hi, v2 :: v_dual_cndmask_b32 v7, exec_hi, v3, vcc_lo
// GFX1250: v_dual_mul_dx9_zero_f32 v255, exec_hi, v2 :: v_dual_cndmask_b32 v7, exec_hi, v3, vcc_lo ; encoding: [0x7f,0x90,0x1c,0xcf,0x7f,0x00,0x02,0x00,0xff,0x03,0x6a,0x07]
// W64-ERR: :[[@LINE-2]]:1: error: instruction requires wavesize=32

v_dual_mul_dx9_zero_f32 v255, exec_lo, v2 :: v_dual_cndmask_b32 v7, exec_lo, v3, vcc_lo
// GFX1250: v_dual_mul_dx9_zero_f32 v255, exec_lo, v2 :: v_dual_cndmask_b32 v7, exec_lo, v3, vcc_lo ; encoding: [0x7e,0x90,0x1c,0xcf,0x7e,0x00,0x02,0x00,0xff,0x03,0x6a,0x07]
// W64-ERR: :[[@LINE-2]]:1: error: instruction requires wavesize=32

v_dual_mul_dx9_zero_f32 v255, m0, v2 :: v_dual_cndmask_b32 v7, m0, v3, vcc_lo
// GFX1250: v_dual_mul_dx9_zero_f32 v255, m0, v2 :: v_dual_cndmask_b32 v7, m0, v3, vcc_lo ; encoding: [0x7d,0x90,0x1c,0xcf,0x7d,0x00,0x02,0x00,0xff,0x03,0x6a,0x07]
// W64-ERR: :[[@LINE-2]]:1: error: instruction requires wavesize=32

v_dual_mul_dx9_zero_f32 v255, vcc_hi, v2 :: v_dual_cndmask_b32 v7, vcc_hi, v3, vcc_lo
// GFX1250: v_dual_mul_dx9_zero_f32 v255, vcc_hi, v2 :: v_dual_cndmask_b32 v7, vcc_hi, v3, vcc_lo ; encoding: [0x6b,0x90,0x1c,0xcf,0x6b,0x00,0x02,0x00,0xff,0x03,0x6a,0x07]
// W64-ERR: :[[@LINE-2]]:1: error: instruction requires wavesize=32

v_dual_mul_dx9_zero_f32 v255, vcc_lo, v2 :: v_dual_cndmask_b32 v7, vcc_lo, v3, vcc_lo
// GFX1250: v_dual_mul_dx9_zero_f32 v255, vcc_lo, v2 :: v_dual_cndmask_b32 v7, vcc_lo, v3, vcc_lo ; encoding: [0x6a,0x90,0x1c,0xcf,0x6a,0x00,0x02,0x00,0xff,0x03,0x6a,0x07]
// W64-ERR: :[[@LINE-2]]:1: error: instruction requires wavesize=32

v_dual_mul_dx9_zero_f32 v255, src_scc, v2 :: v_dual_cndmask_b32 v7, -1, v3, vcc_lo
// GFX1250: v_dual_mul_dx9_zero_f32 v255, src_scc, v2 :: v_dual_cndmask_b32 v7, -1, v3, vcc_lo ; encoding: [0xfd,0x90,0x1c,0xcf,0xc1,0x00,0x02,0x00,0xff,0x03,0x6a,0x07]
// W64-ERR: :[[@LINE-2]]:1: error: instruction requires wavesize=32

v_dual_mul_dx9_zero_f32 v255, 0.5, v3 :: v_dual_cndmask_b32 v7, 0.5, v2, vcc_lo
// GFX1250: v_dual_mul_dx9_zero_f32 v255, 0.5, v3 :: v_dual_cndmask_b32 v7, 0.5, v2, vcc_lo ; encoding: [0xf0,0x90,0x1c,0xcf,0xf0,0x00,0x03,0x00,0xff,0x02,0x6a,0x07]
// W64-ERR: :[[@LINE-2]]:1: error: instruction requires wavesize=32

v_dual_mul_dx9_zero_f32 v255, -1, v4 :: v_dual_cndmask_b32 v7, src_scc, v5, vcc_lo
// GFX1250: v_dual_mul_dx9_zero_f32 v255, -1, v4 :: v_dual_cndmask_b32 v7, src_scc, v5, vcc_lo ; encoding: [0xc1,0x90,0x1c,0xcf,0xfd,0x00,0x04,0x00,0xff,0x05,0x6a,0x07]
// W64-ERR: :[[@LINE-2]]:1: error: instruction requires wavesize=32

v_dual_mul_dx9_zero_f32 v255, v4, v2 :: v_dual_fmac_f32 v7, v1, v3
// GFX1250: v_dual_mul_dx9_zero_f32 v255, v4, v2 :: v_dual_fmac_f32 v7, v1, v3 ; encoding: [0x04,0x01,0x1c,0xcf,0x01,0x01,0x02,0x00,0xff,0x03,0x00,0x07]
// W64-ERR: :[[@LINE-2]]:1: error: instruction requires wavesize=32

v_dual_mul_dx9_zero_f32 v255, v1, v2 :: v_dual_fmac_f32 v7, v255, v3
// GFX1250: v_dual_mul_dx9_zero_f32 v255, v1, v2 :: v_dual_fmac_f32 v7, v255, v3 ; encoding: [0x01,0x01,0x1c,0xcf,0xff,0x01,0x02,0x00,0xff,0x03,0x00,0x07]
	;; [unrolled: 4-line block ×7, first 2 shown]
// W64-ERR: :[[@LINE-2]]:1: error: instruction requires wavesize=32

v_dual_mul_dx9_zero_f32 v255, ttmp15, v2 :: v_dual_fmac_f32 v7, vcc_lo, v3
// GFX1250: v_dual_mul_dx9_zero_f32 v255, ttmp15, v2 :: v_dual_fmac_f32 v7, vcc_lo, v3 ; encoding: [0x7b,0x00,0x1c,0xcf,0x6a,0x00,0x02,0x00,0xff,0x03,0x00,0x07]
// W64-ERR: :[[@LINE-2]]:1: error: instruction requires wavesize=32

v_dual_mul_dx9_zero_f32 v255, exec_hi, v2 :: v_dual_fmac_f32 v7, vcc_hi, v3
// GFX1250: v_dual_mul_dx9_zero_f32 v255, exec_hi, v2 :: v_dual_fmac_f32 v7, vcc_hi, v3 ; encoding: [0x7f,0x00,0x1c,0xcf,0x6b,0x00,0x02,0x00,0xff,0x03,0x00,0x07]
// W64-ERR: :[[@LINE-2]]:1: error: instruction requires wavesize=32

v_dual_mul_dx9_zero_f32 v255, exec_lo, v2 :: v_dual_fmac_f32 v7, ttmp15, v3
// GFX1250: v_dual_mul_dx9_zero_f32 v255, exec_lo, v2 :: v_dual_fmac_f32 v7, ttmp15, v3 ; encoding: [0x7e,0x00,0x1c,0xcf,0x7b,0x00,0x02,0x00,0xff,0x03,0x00,0x07]
// W64-ERR: :[[@LINE-2]]:1: error: instruction requires wavesize=32

v_dual_mul_dx9_zero_f32 v255, m0, v2 :: v_dual_fmac_f32 v7, m0, v3
// GFX1250: v_dual_mul_dx9_zero_f32 v255, m0, v2 :: v_dual_fmac_f32 v7, m0, v3 ; encoding: [0x7d,0x00,0x1c,0xcf,0x7d,0x00,0x02,0x00,0xff,0x03,0x00,0x07]
// W64-ERR: :[[@LINE-2]]:1: error: instruction requires wavesize=32

v_dual_mul_dx9_zero_f32 v255, vcc_hi, v2 :: v_dual_fmac_f32 v7, exec_lo, v3
// GFX1250: v_dual_mul_dx9_zero_f32 v255, vcc_hi, v2 :: v_dual_fmac_f32 v7, exec_lo, v3 ; encoding: [0x6b,0x00,0x1c,0xcf,0x7e,0x00,0x02,0x00,0xff,0x03,0x00,0x07]
// W64-ERR: :[[@LINE-2]]:1: error: instruction requires wavesize=32

v_dual_mul_dx9_zero_f32 v255, vcc_lo, v2 :: v_dual_fmac_f32 v7, exec_hi, v3
// GFX1250: v_dual_mul_dx9_zero_f32 v255, vcc_lo, v2 :: v_dual_fmac_f32 v7, exec_hi, v3 ; encoding: [0x6a,0x00,0x1c,0xcf,0x7f,0x00,0x02,0x00,0xff,0x03,0x00,0x07]
// W64-ERR: :[[@LINE-2]]:1: error: instruction requires wavesize=32

v_dual_mul_dx9_zero_f32 v255, src_scc, v2 :: v_dual_fmac_f32 v7, -1, v3
// GFX1250: v_dual_mul_dx9_zero_f32 v255, src_scc, v2 :: v_dual_fmac_f32 v7, -1, v3 ; encoding: [0xfd,0x00,0x1c,0xcf,0xc1,0x00,0x02,0x00,0xff,0x03,0x00,0x07]
// W64-ERR: :[[@LINE-2]]:1: error: instruction requires wavesize=32

v_dual_mul_dx9_zero_f32 v255, 0.5, v3 :: v_dual_fmac_f32 v7, 0.5, v2
// GFX1250: v_dual_mul_dx9_zero_f32 v255, 0.5, v3 :: v_dual_fmac_f32 v7, 0.5, v2 ; encoding: [0xf0,0x00,0x1c,0xcf,0xf0,0x00,0x03,0x00,0xff,0x02,0x00,0x07]
// W64-ERR: :[[@LINE-2]]:1: error: instruction requires wavesize=32

v_dual_mul_dx9_zero_f32 v255, -1, v4 :: v_dual_fmac_f32 v7, src_scc, v5
// GFX1250: v_dual_mul_dx9_zero_f32 v255, -1, v4 :: v_dual_fmac_f32 v7, src_scc, v5 ; encoding: [0xc1,0x00,0x1c,0xcf,0xfd,0x00,0x04,0x00,0xff,0x05,0x00,0x07]
// W64-ERR: :[[@LINE-2]]:1: error: instruction requires wavesize=32

v_dual_mul_dx9_zero_f32 v255, v4, v2 :: v_dual_lshlrev_b32 v7, v1, v3
// GFX1250: v_dual_mul_dx9_zero_f32 v255, v4, v2 :: v_dual_lshlrev_b32 v7, v1, v3 ; encoding: [0x04,0x11,0x1d,0xcf,0x01,0x01,0x02,0x00,0xff,0x03,0x00,0x07]
// W64-ERR: :[[@LINE-2]]:1: error: instruction requires wavesize=32

v_dual_mul_dx9_zero_f32 v255, v1, v2 :: v_dual_lshlrev_b32 v7, v255, v3
// GFX1250: v_dual_mul_dx9_zero_f32 v255, v1, v2 :: v_dual_lshlrev_b32 v7, v255, v3 ; encoding: [0x01,0x11,0x1d,0xcf,0xff,0x01,0x02,0x00,0xff,0x03,0x00,0x07]
	;; [unrolled: 4-line block ×7, first 2 shown]
// W64-ERR: :[[@LINE-2]]:1: error: instruction requires wavesize=32

v_dual_mul_dx9_zero_f32 v255, ttmp15, v2 :: v_dual_lshlrev_b32 v7, vcc_lo, v3
// GFX1250: v_dual_mul_dx9_zero_f32 v255, ttmp15, v2 :: v_dual_lshlrev_b32 v7, vcc_lo, v3 ; encoding: [0x7b,0x10,0x1d,0xcf,0x6a,0x00,0x02,0x00,0xff,0x03,0x00,0x07]
// W64-ERR: :[[@LINE-2]]:1: error: instruction requires wavesize=32

v_dual_mul_dx9_zero_f32 v255, exec_hi, v2 :: v_dual_lshlrev_b32 v7, vcc_hi, v3
// GFX1250: v_dual_mul_dx9_zero_f32 v255, exec_hi, v2 :: v_dual_lshlrev_b32 v7, vcc_hi, v3 ; encoding: [0x7f,0x10,0x1d,0xcf,0x6b,0x00,0x02,0x00,0xff,0x03,0x00,0x07]
// W64-ERR: :[[@LINE-2]]:1: error: instruction requires wavesize=32

v_dual_mul_dx9_zero_f32 v255, exec_lo, v2 :: v_dual_lshlrev_b32 v7, ttmp15, v3
// GFX1250: v_dual_mul_dx9_zero_f32 v255, exec_lo, v2 :: v_dual_lshlrev_b32 v7, ttmp15, v3 ; encoding: [0x7e,0x10,0x1d,0xcf,0x7b,0x00,0x02,0x00,0xff,0x03,0x00,0x07]
// W64-ERR: :[[@LINE-2]]:1: error: instruction requires wavesize=32

v_dual_mul_dx9_zero_f32 v255, m0, v2 :: v_dual_lshlrev_b32 v7, m0, v3
// GFX1250: v_dual_mul_dx9_zero_f32 v255, m0, v2 :: v_dual_lshlrev_b32 v7, m0, v3 ; encoding: [0x7d,0x10,0x1d,0xcf,0x7d,0x00,0x02,0x00,0xff,0x03,0x00,0x07]
// W64-ERR: :[[@LINE-2]]:1: error: instruction requires wavesize=32

v_dual_mul_dx9_zero_f32 v255, vcc_hi, v2 :: v_dual_lshlrev_b32 v7, exec_lo, v3
// GFX1250: v_dual_mul_dx9_zero_f32 v255, vcc_hi, v2 :: v_dual_lshlrev_b32 v7, exec_lo, v3 ; encoding: [0x6b,0x10,0x1d,0xcf,0x7e,0x00,0x02,0x00,0xff,0x03,0x00,0x07]
// W64-ERR: :[[@LINE-2]]:1: error: instruction requires wavesize=32

v_dual_mul_dx9_zero_f32 v255, vcc_lo, v2 :: v_dual_lshlrev_b32 v7, exec_hi, v3
// GFX1250: v_dual_mul_dx9_zero_f32 v255, vcc_lo, v2 :: v_dual_lshlrev_b32 v7, exec_hi, v3 ; encoding: [0x6a,0x10,0x1d,0xcf,0x7f,0x00,0x02,0x00,0xff,0x03,0x00,0x07]
// W64-ERR: :[[@LINE-2]]:1: error: instruction requires wavesize=32

v_dual_mul_dx9_zero_f32 v255, src_scc, v2 :: v_dual_lshlrev_b32 v7, -1, v3
// GFX1250: v_dual_mul_dx9_zero_f32 v255, src_scc, v2 :: v_dual_lshlrev_b32 v7, -1, v3 ; encoding: [0xfd,0x10,0x1d,0xcf,0xc1,0x00,0x02,0x00,0xff,0x03,0x00,0x07]
// W64-ERR: :[[@LINE-2]]:1: error: instruction requires wavesize=32

v_dual_mul_dx9_zero_f32 v255, 0.5, v3 :: v_dual_lshlrev_b32 v7, 0.5, v2
// GFX1250: v_dual_mul_dx9_zero_f32 v255, 0.5, v3 :: v_dual_lshlrev_b32 v7, 0.5, v2 ; encoding: [0xf0,0x10,0x1d,0xcf,0xf0,0x00,0x03,0x00,0xff,0x02,0x00,0x07]
// W64-ERR: :[[@LINE-2]]:1: error: instruction requires wavesize=32

v_dual_mul_dx9_zero_f32 v255, -1, v4 :: v_dual_lshlrev_b32 v7, src_scc, v5
// GFX1250: v_dual_mul_dx9_zero_f32 v255, -1, v4 :: v_dual_lshlrev_b32 v7, src_scc, v5 ; encoding: [0xc1,0x10,0x1d,0xcf,0xfd,0x00,0x04,0x00,0xff,0x05,0x00,0x07]
// W64-ERR: :[[@LINE-2]]:1: error: instruction requires wavesize=32

v_dual_mul_dx9_zero_f32 v255, v4, v2 :: v_dual_max_num_f32 v7, v1, v3
// GFX1250: v_dual_mul_dx9_zero_f32 v255, v4, v2 :: v_dual_max_num_f32 v7, v1, v3 ; encoding: [0x04,0xa1,0x1c,0xcf,0x01,0x01,0x02,0x00,0xff,0x03,0x00,0x07]
// W64-ERR: :[[@LINE-2]]:1: error: instruction requires wavesize=32

v_dual_mul_dx9_zero_f32 v255, v1, v2 :: v_dual_max_num_f32 v7, v255, v3
// GFX1250: v_dual_mul_dx9_zero_f32 v255, v1, v2 :: v_dual_max_num_f32 v7, v255, v3 ; encoding: [0x01,0xa1,0x1c,0xcf,0xff,0x01,0x02,0x00,0xff,0x03,0x00,0x07]
	;; [unrolled: 4-line block ×7, first 2 shown]
// W64-ERR: :[[@LINE-2]]:1: error: instruction requires wavesize=32

v_dual_mul_dx9_zero_f32 v255, ttmp15, v2 :: v_dual_max_num_f32 v7, vcc_lo, v3
// GFX1250: v_dual_mul_dx9_zero_f32 v255, ttmp15, v2 :: v_dual_max_num_f32 v7, vcc_lo, v3 ; encoding: [0x7b,0xa0,0x1c,0xcf,0x6a,0x00,0x02,0x00,0xff,0x03,0x00,0x07]
// W64-ERR: :[[@LINE-2]]:1: error: instruction requires wavesize=32

v_dual_mul_dx9_zero_f32 v255, exec_hi, v2 :: v_dual_max_num_f32 v7, vcc_hi, v3
// GFX1250: v_dual_mul_dx9_zero_f32 v255, exec_hi, v2 :: v_dual_max_num_f32 v7, vcc_hi, v3 ; encoding: [0x7f,0xa0,0x1c,0xcf,0x6b,0x00,0x02,0x00,0xff,0x03,0x00,0x07]
// W64-ERR: :[[@LINE-2]]:1: error: instruction requires wavesize=32

v_dual_mul_dx9_zero_f32 v255, exec_lo, v2 :: v_dual_max_num_f32 v7, ttmp15, v3
// GFX1250: v_dual_mul_dx9_zero_f32 v255, exec_lo, v2 :: v_dual_max_num_f32 v7, ttmp15, v3 ; encoding: [0x7e,0xa0,0x1c,0xcf,0x7b,0x00,0x02,0x00,0xff,0x03,0x00,0x07]
// W64-ERR: :[[@LINE-2]]:1: error: instruction requires wavesize=32

v_dual_mul_dx9_zero_f32 v255, m0, v2 :: v_dual_max_num_f32 v7, m0, v3
// GFX1250: v_dual_mul_dx9_zero_f32 v255, m0, v2 :: v_dual_max_num_f32 v7, m0, v3 ; encoding: [0x7d,0xa0,0x1c,0xcf,0x7d,0x00,0x02,0x00,0xff,0x03,0x00,0x07]
// W64-ERR: :[[@LINE-2]]:1: error: instruction requires wavesize=32

v_dual_mul_dx9_zero_f32 v255, vcc_hi, v2 :: v_dual_max_num_f32 v7, exec_lo, v3
// GFX1250: v_dual_mul_dx9_zero_f32 v255, vcc_hi, v2 :: v_dual_max_num_f32 v7, exec_lo, v3 ; encoding: [0x6b,0xa0,0x1c,0xcf,0x7e,0x00,0x02,0x00,0xff,0x03,0x00,0x07]
// W64-ERR: :[[@LINE-2]]:1: error: instruction requires wavesize=32

v_dual_mul_dx9_zero_f32 v255, vcc_lo, v2 :: v_dual_max_num_f32 v7, exec_hi, v3
// GFX1250: v_dual_mul_dx9_zero_f32 v255, vcc_lo, v2 :: v_dual_max_num_f32 v7, exec_hi, v3 ; encoding: [0x6a,0xa0,0x1c,0xcf,0x7f,0x00,0x02,0x00,0xff,0x03,0x00,0x07]
// W64-ERR: :[[@LINE-2]]:1: error: instruction requires wavesize=32

v_dual_mul_dx9_zero_f32 v255, src_scc, v2 :: v_dual_max_num_f32 v7, -1, v3
// GFX1250: v_dual_mul_dx9_zero_f32 v255, src_scc, v2 :: v_dual_max_num_f32 v7, -1, v3 ; encoding: [0xfd,0xa0,0x1c,0xcf,0xc1,0x00,0x02,0x00,0xff,0x03,0x00,0x07]
// W64-ERR: :[[@LINE-2]]:1: error: instruction requires wavesize=32

v_dual_mul_dx9_zero_f32 v255, 0.5, v3 :: v_dual_max_num_f32 v7, 0.5, v2
// GFX1250: v_dual_mul_dx9_zero_f32 v255, 0.5, v3 :: v_dual_max_num_f32 v7, 0.5, v2 ; encoding: [0xf0,0xa0,0x1c,0xcf,0xf0,0x00,0x03,0x00,0xff,0x02,0x00,0x07]
// W64-ERR: :[[@LINE-2]]:1: error: instruction requires wavesize=32

v_dual_mul_dx9_zero_f32 v255, -1, v4 :: v_dual_max_num_f32 v7, src_scc, v5
// GFX1250: v_dual_mul_dx9_zero_f32 v255, -1, v4 :: v_dual_max_num_f32 v7, src_scc, v5 ; encoding: [0xc1,0xa0,0x1c,0xcf,0xfd,0x00,0x04,0x00,0xff,0x05,0x00,0x07]
// W64-ERR: :[[@LINE-2]]:1: error: instruction requires wavesize=32

v_dual_mul_dx9_zero_f32 v255, v4, v2 :: v_dual_min_num_f32 v7, v1, v3
// GFX1250: v_dual_mul_dx9_zero_f32 v255, v4, v2 :: v_dual_min_num_f32 v7, v1, v3 ; encoding: [0x04,0xb1,0x1c,0xcf,0x01,0x01,0x02,0x00,0xff,0x03,0x00,0x07]
// W64-ERR: :[[@LINE-2]]:1: error: instruction requires wavesize=32

v_dual_mul_dx9_zero_f32 v255, v1, v2 :: v_dual_min_num_f32 v7, v255, v3
// GFX1250: v_dual_mul_dx9_zero_f32 v255, v1, v2 :: v_dual_min_num_f32 v7, v255, v3 ; encoding: [0x01,0xb1,0x1c,0xcf,0xff,0x01,0x02,0x00,0xff,0x03,0x00,0x07]
	;; [unrolled: 4-line block ×7, first 2 shown]
// W64-ERR: :[[@LINE-2]]:1: error: instruction requires wavesize=32

v_dual_mul_dx9_zero_f32 v255, ttmp15, v2 :: v_dual_min_num_f32 v7, vcc_lo, v3
// GFX1250: v_dual_mul_dx9_zero_f32 v255, ttmp15, v2 :: v_dual_min_num_f32 v7, vcc_lo, v3 ; encoding: [0x7b,0xb0,0x1c,0xcf,0x6a,0x00,0x02,0x00,0xff,0x03,0x00,0x07]
// W64-ERR: :[[@LINE-2]]:1: error: instruction requires wavesize=32

v_dual_mul_dx9_zero_f32 v255, exec_hi, v2 :: v_dual_min_num_f32 v7, vcc_hi, v3
// GFX1250: v_dual_mul_dx9_zero_f32 v255, exec_hi, v2 :: v_dual_min_num_f32 v7, vcc_hi, v3 ; encoding: [0x7f,0xb0,0x1c,0xcf,0x6b,0x00,0x02,0x00,0xff,0x03,0x00,0x07]
// W64-ERR: :[[@LINE-2]]:1: error: instruction requires wavesize=32

v_dual_mul_dx9_zero_f32 v255, exec_lo, v2 :: v_dual_min_num_f32 v7, ttmp15, v3
// GFX1250: v_dual_mul_dx9_zero_f32 v255, exec_lo, v2 :: v_dual_min_num_f32 v7, ttmp15, v3 ; encoding: [0x7e,0xb0,0x1c,0xcf,0x7b,0x00,0x02,0x00,0xff,0x03,0x00,0x07]
// W64-ERR: :[[@LINE-2]]:1: error: instruction requires wavesize=32

v_dual_mul_dx9_zero_f32 v255, m0, v2 :: v_dual_min_num_f32 v7, m0, v3
// GFX1250: v_dual_mul_dx9_zero_f32 v255, m0, v2 :: v_dual_min_num_f32 v7, m0, v3 ; encoding: [0x7d,0xb0,0x1c,0xcf,0x7d,0x00,0x02,0x00,0xff,0x03,0x00,0x07]
// W64-ERR: :[[@LINE-2]]:1: error: instruction requires wavesize=32

v_dual_mul_dx9_zero_f32 v255, vcc_hi, v2 :: v_dual_min_num_f32 v7, exec_lo, v3
// GFX1250: v_dual_mul_dx9_zero_f32 v255, vcc_hi, v2 :: v_dual_min_num_f32 v7, exec_lo, v3 ; encoding: [0x6b,0xb0,0x1c,0xcf,0x7e,0x00,0x02,0x00,0xff,0x03,0x00,0x07]
// W64-ERR: :[[@LINE-2]]:1: error: instruction requires wavesize=32

v_dual_mul_dx9_zero_f32 v255, vcc_lo, v2 :: v_dual_min_num_f32 v7, exec_hi, v3
// GFX1250: v_dual_mul_dx9_zero_f32 v255, vcc_lo, v2 :: v_dual_min_num_f32 v7, exec_hi, v3 ; encoding: [0x6a,0xb0,0x1c,0xcf,0x7f,0x00,0x02,0x00,0xff,0x03,0x00,0x07]
// W64-ERR: :[[@LINE-2]]:1: error: instruction requires wavesize=32

v_dual_mul_dx9_zero_f32 v255, src_scc, v2 :: v_dual_min_num_f32 v7, -1, v3
// GFX1250: v_dual_mul_dx9_zero_f32 v255, src_scc, v2 :: v_dual_min_num_f32 v7, -1, v3 ; encoding: [0xfd,0xb0,0x1c,0xcf,0xc1,0x00,0x02,0x00,0xff,0x03,0x00,0x07]
// W64-ERR: :[[@LINE-2]]:1: error: instruction requires wavesize=32

v_dual_mul_dx9_zero_f32 v255, 0.5, v3 :: v_dual_min_num_f32 v7, 0.5, v2
// GFX1250: v_dual_mul_dx9_zero_f32 v255, 0.5, v3 :: v_dual_min_num_f32 v7, 0.5, v2 ; encoding: [0xf0,0xb0,0x1c,0xcf,0xf0,0x00,0x03,0x00,0xff,0x02,0x00,0x07]
// W64-ERR: :[[@LINE-2]]:1: error: instruction requires wavesize=32

v_dual_mul_dx9_zero_f32 v255, -1, v4 :: v_dual_min_num_f32 v7, src_scc, v5
// GFX1250: v_dual_mul_dx9_zero_f32 v255, -1, v4 :: v_dual_min_num_f32 v7, src_scc, v5 ; encoding: [0xc1,0xb0,0x1c,0xcf,0xfd,0x00,0x04,0x00,0xff,0x05,0x00,0x07]
// W64-ERR: :[[@LINE-2]]:1: error: instruction requires wavesize=32

v_dual_mul_dx9_zero_f32 v255, v4, v255 :: v_dual_mov_b32 v7, v1
// GFX1250: v_dual_mul_dx9_zero_f32 v255, v4, v255 :: v_dual_mov_b32 v7, v1 ; encoding: [0x04,0x81,0x1c,0xcf,0x01,0x01,0xff,0x00,0xff,0x00,0x00,0x07]
// W64-ERR: :[[@LINE-2]]:1: error: instruction requires wavesize=32

v_dual_mul_dx9_zero_f32 v255, v1, v255 :: v_dual_mov_b32 v7, v255
// GFX1250: v_dual_mul_dx9_zero_f32 v255, v1, v255 :: v_dual_mov_b32 v7, v255 ; encoding: [0x01,0x81,0x1c,0xcf,0xff,0x01,0xff,0x00,0xff,0x00,0x00,0x07]
	;; [unrolled: 4-line block ×7, first 2 shown]
// W64-ERR: :[[@LINE-2]]:1: error: instruction requires wavesize=32

v_dual_mul_dx9_zero_f32 v255, ttmp15, v255 :: v_dual_mov_b32 v7, vcc_lo
// GFX1250: v_dual_mul_dx9_zero_f32 v255, ttmp15, v255 :: v_dual_mov_b32 v7, vcc_lo ; encoding: [0x7b,0x80,0x1c,0xcf,0x6a,0x00,0xff,0x00,0xff,0x00,0x00,0x07]
// W64-ERR: :[[@LINE-2]]:1: error: instruction requires wavesize=32

v_dual_mul_dx9_zero_f32 v255, exec_hi, v255 :: v_dual_mov_b32 v7, vcc_hi
// GFX1250: v_dual_mul_dx9_zero_f32 v255, exec_hi, v255 :: v_dual_mov_b32 v7, vcc_hi ; encoding: [0x7f,0x80,0x1c,0xcf,0x6b,0x00,0xff,0x00,0xff,0x00,0x00,0x07]
// W64-ERR: :[[@LINE-2]]:1: error: instruction requires wavesize=32

v_dual_mul_dx9_zero_f32 v255, exec_lo, v255 :: v_dual_mov_b32 v7, ttmp15
// GFX1250: v_dual_mul_dx9_zero_f32 v255, exec_lo, v255 :: v_dual_mov_b32 v7, ttmp15 ; encoding: [0x7e,0x80,0x1c,0xcf,0x7b,0x00,0xff,0x00,0xff,0x00,0x00,0x07]
// W64-ERR: :[[@LINE-2]]:1: error: instruction requires wavesize=32

v_dual_mul_dx9_zero_f32 v255, m0, v255 :: v_dual_mov_b32 v7, m0
// GFX1250: v_dual_mul_dx9_zero_f32 v255, m0, v255 :: v_dual_mov_b32 v7, m0 ; encoding: [0x7d,0x80,0x1c,0xcf,0x7d,0x00,0xff,0x00,0xff,0x00,0x00,0x07]
// W64-ERR: :[[@LINE-2]]:1: error: instruction requires wavesize=32

v_dual_mul_dx9_zero_f32 v255, vcc_hi, v255 :: v_dual_mov_b32 v7, exec_lo
// GFX1250: v_dual_mul_dx9_zero_f32 v255, vcc_hi, v255 :: v_dual_mov_b32 v7, exec_lo ; encoding: [0x6b,0x80,0x1c,0xcf,0x7e,0x00,0xff,0x00,0xff,0x00,0x00,0x07]
// W64-ERR: :[[@LINE-2]]:1: error: instruction requires wavesize=32

v_dual_mul_dx9_zero_f32 v255, vcc_lo, v255 :: v_dual_mov_b32 v7, exec_hi
// GFX1250: v_dual_mul_dx9_zero_f32 v255, vcc_lo, v255 :: v_dual_mov_b32 v7, exec_hi ; encoding: [0x6a,0x80,0x1c,0xcf,0x7f,0x00,0xff,0x00,0xff,0x00,0x00,0x07]
// W64-ERR: :[[@LINE-2]]:1: error: instruction requires wavesize=32

v_dual_mul_dx9_zero_f32 v255, src_scc, v255 :: v_dual_mov_b32 v7, -1
// GFX1250: v_dual_mul_dx9_zero_f32 v255, src_scc, v255 :: v_dual_mov_b32 v7, -1 ; encoding: [0xfd,0x80,0x1c,0xcf,0xc1,0x00,0xff,0x00,0xff,0x00,0x00,0x07]
// W64-ERR: :[[@LINE-2]]:1: error: instruction requires wavesize=32

v_dual_mul_dx9_zero_f32 v255, 0.5, v3 :: v_dual_mov_b32 v7, 0.5
// GFX1250: v_dual_mul_dx9_zero_f32 v255, 0.5, v3 :: v_dual_mov_b32 v7, 0.5 ; encoding: [0xf0,0x80,0x1c,0xcf,0xf0,0x00,0x03,0x00,0xff,0x00,0x00,0x07]
// W64-ERR: :[[@LINE-2]]:1: error: instruction requires wavesize=32

v_dual_mul_dx9_zero_f32 v255, -1, v4 :: v_dual_mov_b32 v7, src_scc
// GFX1250: v_dual_mul_dx9_zero_f32 v255, -1, v4 :: v_dual_mov_b32 v7, src_scc ; encoding: [0xc1,0x80,0x1c,0xcf,0xfd,0x00,0x04,0x00,0xff,0x00,0x00,0x07]
// W64-ERR: :[[@LINE-2]]:1: error: instruction requires wavesize=32

v_dual_mul_dx9_zero_f32 v255, v4, v2 :: v_dual_mul_dx9_zero_f32 v7, v1, v3
// GFX1250: v_dual_mul_dx9_zero_f32 v255, v4, v2 :: v_dual_mul_dx9_zero_f32 v7, v1, v3 ; encoding: [0x04,0x71,0x1c,0xcf,0x01,0x01,0x02,0x00,0xff,0x03,0x00,0x07]
// W64-ERR: :[[@LINE-2]]:1: error: instruction requires wavesize=32

v_dual_mul_dx9_zero_f32 v255, v1, v2 :: v_dual_mul_dx9_zero_f32 v7, v255, v3
// GFX1250: v_dual_mul_dx9_zero_f32 v255, v1, v2 :: v_dual_mul_dx9_zero_f32 v7, v255, v3 ; encoding: [0x01,0x71,0x1c,0xcf,0xff,0x01,0x02,0x00,0xff,0x03,0x00,0x07]
	;; [unrolled: 4-line block ×7, first 2 shown]
// W64-ERR: :[[@LINE-2]]:1: error: instruction requires wavesize=32

v_dual_mul_dx9_zero_f32 v255, ttmp15, v2 :: v_dual_mul_dx9_zero_f32 v7, vcc_lo, v3
// GFX1250: v_dual_mul_dx9_zero_f32 v255, ttmp15, v2 :: v_dual_mul_dx9_zero_f32 v7, vcc_lo, v3 ; encoding: [0x7b,0x70,0x1c,0xcf,0x6a,0x00,0x02,0x00,0xff,0x03,0x00,0x07]
// W64-ERR: :[[@LINE-2]]:1: error: instruction requires wavesize=32

v_dual_mul_dx9_zero_f32 v255, exec_hi, v2 :: v_dual_mul_dx9_zero_f32 v7, vcc_hi, v3
// GFX1250: v_dual_mul_dx9_zero_f32 v255, exec_hi, v2 :: v_dual_mul_dx9_zero_f32 v7, vcc_hi, v3 ; encoding: [0x7f,0x70,0x1c,0xcf,0x6b,0x00,0x02,0x00,0xff,0x03,0x00,0x07]
// W64-ERR: :[[@LINE-2]]:1: error: instruction requires wavesize=32

v_dual_mul_dx9_zero_f32 v255, exec_lo, v2 :: v_dual_mul_dx9_zero_f32 v7, ttmp15, v3
// GFX1250: v_dual_mul_dx9_zero_f32 v255, exec_lo, v2 :: v_dual_mul_dx9_zero_f32 v7, ttmp15, v3 ; encoding: [0x7e,0x70,0x1c,0xcf,0x7b,0x00,0x02,0x00,0xff,0x03,0x00,0x07]
// W64-ERR: :[[@LINE-2]]:1: error: instruction requires wavesize=32

v_dual_mul_dx9_zero_f32 v255, m0, v2 :: v_dual_mul_dx9_zero_f32 v7, m0, v3
// GFX1250: v_dual_mul_dx9_zero_f32 v255, m0, v2 :: v_dual_mul_dx9_zero_f32 v7, m0, v3 ; encoding: [0x7d,0x70,0x1c,0xcf,0x7d,0x00,0x02,0x00,0xff,0x03,0x00,0x07]
// W64-ERR: :[[@LINE-2]]:1: error: instruction requires wavesize=32

v_dual_mul_dx9_zero_f32 v255, vcc_hi, v2 :: v_dual_mul_dx9_zero_f32 v7, exec_lo, v3
// GFX1250: v_dual_mul_dx9_zero_f32 v255, vcc_hi, v2 :: v_dual_mul_dx9_zero_f32 v7, exec_lo, v3 ; encoding: [0x6b,0x70,0x1c,0xcf,0x7e,0x00,0x02,0x00,0xff,0x03,0x00,0x07]
// W64-ERR: :[[@LINE-2]]:1: error: instruction requires wavesize=32

v_dual_mul_dx9_zero_f32 v255, vcc_lo, v2 :: v_dual_mul_dx9_zero_f32 v7, exec_hi, v3
// GFX1250: v_dual_mul_dx9_zero_f32 v255, vcc_lo, v2 :: v_dual_mul_dx9_zero_f32 v7, exec_hi, v3 ; encoding: [0x6a,0x70,0x1c,0xcf,0x7f,0x00,0x02,0x00,0xff,0x03,0x00,0x07]
// W64-ERR: :[[@LINE-2]]:1: error: instruction requires wavesize=32

v_dual_mul_dx9_zero_f32 v255, src_scc, v2 :: v_dual_mul_dx9_zero_f32 v7, -1, v3
// GFX1250: v_dual_mul_dx9_zero_f32 v255, src_scc, v2 :: v_dual_mul_dx9_zero_f32 v7, -1, v3 ; encoding: [0xfd,0x70,0x1c,0xcf,0xc1,0x00,0x02,0x00,0xff,0x03,0x00,0x07]
// W64-ERR: :[[@LINE-2]]:1: error: instruction requires wavesize=32

v_dual_mul_dx9_zero_f32 v255, 0.5, v3 :: v_dual_mul_dx9_zero_f32 v7, 0.5, v2
// GFX1250: v_dual_mul_dx9_zero_f32 v255, 0.5, v3 :: v_dual_mul_dx9_zero_f32 v7, 0.5, v2 ; encoding: [0xf0,0x70,0x1c,0xcf,0xf0,0x00,0x03,0x00,0xff,0x02,0x00,0x07]
// W64-ERR: :[[@LINE-2]]:1: error: instruction requires wavesize=32

v_dual_mul_dx9_zero_f32 v255, -1, v4 :: v_dual_mul_dx9_zero_f32 v7, src_scc, v5
// GFX1250: v_dual_mul_dx9_zero_f32 v255, -1, v4 :: v_dual_mul_dx9_zero_f32 v7, src_scc, v5 ; encoding: [0xc1,0x70,0x1c,0xcf,0xfd,0x00,0x04,0x00,0xff,0x05,0x00,0x07]
// W64-ERR: :[[@LINE-2]]:1: error: instruction requires wavesize=32

v_dual_mul_dx9_zero_f32 v255, v4, v2 :: v_dual_mul_f32 v7, v1, v3
// GFX1250: v_dual_mul_dx9_zero_f32 v255, v4, v2 :: v_dual_mul_f32 v7, v1, v3 ; encoding: [0x04,0x31,0x1c,0xcf,0x01,0x01,0x02,0x00,0xff,0x03,0x00,0x07]
// W64-ERR: :[[@LINE-2]]:1: error: instruction requires wavesize=32

v_dual_mul_dx9_zero_f32 v255, v1, v2 :: v_dual_mul_f32 v7, v255, v3
// GFX1250: v_dual_mul_dx9_zero_f32 v255, v1, v2 :: v_dual_mul_f32 v7, v255, v3 ; encoding: [0x01,0x31,0x1c,0xcf,0xff,0x01,0x02,0x00,0xff,0x03,0x00,0x07]
// W64-ERR: :[[@LINE-2]]:1: error: instruction requires wavesize=32

v_dual_mul_dx9_zero_f32 v255, v255, v2 :: v_dual_mul_f32 v7, v2, v3
// GFX1250: v_dual_mul_dx9_zero_f32 v255, v255, v2 :: v_dual_mul_f32 v7, v2, v3 ; encoding: [0xff,0x31,0x1c,0xcf,0x02,0x01,0x02,0x00,0xff,0x03,0x00,0x07]
// W64-ERR: :[[@LINE-2]]:1: error: instruction requires wavesize=32

v_dual_mul_dx9_zero_f32 v255, v2, v2 :: v_dual_mul_f32 v7, v3, v3
// GFX1250: v_dual_mul_dx9_zero_f32 v255, v2, v2 :: v_dual_mul_f32 v7, v3, v3 ; encoding: [0x02,0x31,0x1c,0xcf,0x03,0x01,0x02,0x00,0xff,0x03,0x00,0x07]
// W64-ERR: :[[@LINE-2]]:1: error: instruction requires wavesize=32

v_dual_mul_dx9_zero_f32 v255, v3, v2 :: v_dual_mul_f32 v7, v4, v3
// GFX1250: v_dual_mul_dx9_zero_f32 v255, v3, v2 :: v_dual_mul_f32 v7, v4, v3 ; encoding: [0x03,0x31,0x1c,0xcf,0x04,0x01,0x02,0x00,0xff,0x03,0x00,0x07]
// W64-ERR: :[[@LINE-2]]:1: error: instruction requires wavesize=32

v_dual_mul_dx9_zero_f32 v255, s105, v2 :: v_dual_mul_f32 v7, s1, v3
// GFX1250: v_dual_mul_dx9_zero_f32 v255, s105, v2 :: v_dual_mul_f32 v7, s1, v3 ; encoding: [0x69,0x30,0x1c,0xcf,0x01,0x00,0x02,0x00,0xff,0x03,0x00,0x07]
// W64-ERR: :[[@LINE-2]]:1: error: instruction requires wavesize=32

v_dual_mul_dx9_zero_f32 v255, s1, v2 :: v_dual_mul_f32 v7, s105, v3
// GFX1250: v_dual_mul_dx9_zero_f32 v255, s1, v2 :: v_dual_mul_f32 v7, s105, v3 ; encoding: [0x01,0x30,0x1c,0xcf,0x69,0x00,0x02,0x00,0xff,0x03,0x00,0x07]
// W64-ERR: :[[@LINE-2]]:1: error: instruction requires wavesize=32

v_dual_mul_dx9_zero_f32 v255, ttmp15, v2 :: v_dual_mul_f32 v7, vcc_lo, v3
// GFX1250: v_dual_mul_dx9_zero_f32 v255, ttmp15, v2 :: v_dual_mul_f32 v7, vcc_lo, v3 ; encoding: [0x7b,0x30,0x1c,0xcf,0x6a,0x00,0x02,0x00,0xff,0x03,0x00,0x07]
// W64-ERR: :[[@LINE-2]]:1: error: instruction requires wavesize=32

v_dual_mul_dx9_zero_f32 v255, exec_hi, v2 :: v_dual_mul_f32 v7, vcc_hi, v3
// GFX1250: v_dual_mul_dx9_zero_f32 v255, exec_hi, v2 :: v_dual_mul_f32 v7, vcc_hi, v3 ; encoding: [0x7f,0x30,0x1c,0xcf,0x6b,0x00,0x02,0x00,0xff,0x03,0x00,0x07]
// W64-ERR: :[[@LINE-2]]:1: error: instruction requires wavesize=32

v_dual_mul_dx9_zero_f32 v255, exec_lo, v2 :: v_dual_mul_f32 v7, ttmp15, v3
// GFX1250: v_dual_mul_dx9_zero_f32 v255, exec_lo, v2 :: v_dual_mul_f32 v7, ttmp15, v3 ; encoding: [0x7e,0x30,0x1c,0xcf,0x7b,0x00,0x02,0x00,0xff,0x03,0x00,0x07]
// W64-ERR: :[[@LINE-2]]:1: error: instruction requires wavesize=32

v_dual_mul_dx9_zero_f32 v255, m0, v2 :: v_dual_mul_f32 v7, m0, v3
// GFX1250: v_dual_mul_dx9_zero_f32 v255, m0, v2 :: v_dual_mul_f32 v7, m0, v3 ; encoding: [0x7d,0x30,0x1c,0xcf,0x7d,0x00,0x02,0x00,0xff,0x03,0x00,0x07]
// W64-ERR: :[[@LINE-2]]:1: error: instruction requires wavesize=32

v_dual_mul_dx9_zero_f32 v255, vcc_hi, v2 :: v_dual_mul_f32 v7, exec_lo, v3
// GFX1250: v_dual_mul_dx9_zero_f32 v255, vcc_hi, v2 :: v_dual_mul_f32 v7, exec_lo, v3 ; encoding: [0x6b,0x30,0x1c,0xcf,0x7e,0x00,0x02,0x00,0xff,0x03,0x00,0x07]
// W64-ERR: :[[@LINE-2]]:1: error: instruction requires wavesize=32

v_dual_mul_dx9_zero_f32 v255, vcc_lo, v2 :: v_dual_mul_f32 v7, exec_hi, v3
// GFX1250: v_dual_mul_dx9_zero_f32 v255, vcc_lo, v2 :: v_dual_mul_f32 v7, exec_hi, v3 ; encoding: [0x6a,0x30,0x1c,0xcf,0x7f,0x00,0x02,0x00,0xff,0x03,0x00,0x07]
// W64-ERR: :[[@LINE-2]]:1: error: instruction requires wavesize=32

v_dual_mul_dx9_zero_f32 v255, src_scc, v2 :: v_dual_mul_f32 v7, -1, v3
// GFX1250: v_dual_mul_dx9_zero_f32 v255, src_scc, v2 :: v_dual_mul_f32 v7, -1, v3 ; encoding: [0xfd,0x30,0x1c,0xcf,0xc1,0x00,0x02,0x00,0xff,0x03,0x00,0x07]
// W64-ERR: :[[@LINE-2]]:1: error: instruction requires wavesize=32

v_dual_mul_dx9_zero_f32 v255, 0.5, v3 :: v_dual_mul_f32 v7, 0.5, v2
// GFX1250: v_dual_mul_dx9_zero_f32 v255, 0.5, v3 :: v_dual_mul_f32 v7, 0.5, v2 ; encoding: [0xf0,0x30,0x1c,0xcf,0xf0,0x00,0x03,0x00,0xff,0x02,0x00,0x07]
// W64-ERR: :[[@LINE-2]]:1: error: instruction requires wavesize=32

v_dual_mul_dx9_zero_f32 v255, -1, v4 :: v_dual_mul_f32 v7, src_scc, v5
// GFX1250: v_dual_mul_dx9_zero_f32 v255, -1, v4 :: v_dual_mul_f32 v7, src_scc, v5 ; encoding: [0xc1,0x30,0x1c,0xcf,0xfd,0x00,0x04,0x00,0xff,0x05,0x00,0x07]
// W64-ERR: :[[@LINE-2]]:1: error: instruction requires wavesize=32

v_dual_mul_dx9_zero_f32 v255, v4, v2 :: v_dual_sub_f32 v7, v1, v3
// GFX1250: v_dual_mul_dx9_zero_f32 v255, v4, v2 :: v_dual_sub_f32 v7, v1, v3 ; encoding: [0x04,0x51,0x1c,0xcf,0x01,0x01,0x02,0x00,0xff,0x03,0x00,0x07]
// W64-ERR: :[[@LINE-2]]:1: error: instruction requires wavesize=32

v_dual_mul_dx9_zero_f32 v255, v1, v2 :: v_dual_sub_f32 v7, v255, v3
// GFX1250: v_dual_mul_dx9_zero_f32 v255, v1, v2 :: v_dual_sub_f32 v7, v255, v3 ; encoding: [0x01,0x51,0x1c,0xcf,0xff,0x01,0x02,0x00,0xff,0x03,0x00,0x07]
	;; [unrolled: 4-line block ×7, first 2 shown]
// W64-ERR: :[[@LINE-2]]:1: error: instruction requires wavesize=32

v_dual_mul_dx9_zero_f32 v255, ttmp15, v2 :: v_dual_sub_f32 v7, vcc_lo, v3
// GFX1250: v_dual_mul_dx9_zero_f32 v255, ttmp15, v2 :: v_dual_sub_f32 v7, vcc_lo, v3 ; encoding: [0x7b,0x50,0x1c,0xcf,0x6a,0x00,0x02,0x00,0xff,0x03,0x00,0x07]
// W64-ERR: :[[@LINE-2]]:1: error: instruction requires wavesize=32

v_dual_mul_dx9_zero_f32 v255, exec_hi, v2 :: v_dual_sub_f32 v7, vcc_hi, v3
// GFX1250: v_dual_mul_dx9_zero_f32 v255, exec_hi, v2 :: v_dual_sub_f32 v7, vcc_hi, v3 ; encoding: [0x7f,0x50,0x1c,0xcf,0x6b,0x00,0x02,0x00,0xff,0x03,0x00,0x07]
// W64-ERR: :[[@LINE-2]]:1: error: instruction requires wavesize=32

v_dual_mul_dx9_zero_f32 v255, exec_lo, v2 :: v_dual_sub_f32 v7, ttmp15, v3
// GFX1250: v_dual_mul_dx9_zero_f32 v255, exec_lo, v2 :: v_dual_sub_f32 v7, ttmp15, v3 ; encoding: [0x7e,0x50,0x1c,0xcf,0x7b,0x00,0x02,0x00,0xff,0x03,0x00,0x07]
// W64-ERR: :[[@LINE-2]]:1: error: instruction requires wavesize=32

v_dual_mul_dx9_zero_f32 v255, m0, v2 :: v_dual_sub_f32 v7, m0, v3
// GFX1250: v_dual_mul_dx9_zero_f32 v255, m0, v2 :: v_dual_sub_f32 v7, m0, v3 ; encoding: [0x7d,0x50,0x1c,0xcf,0x7d,0x00,0x02,0x00,0xff,0x03,0x00,0x07]
// W64-ERR: :[[@LINE-2]]:1: error: instruction requires wavesize=32

v_dual_mul_dx9_zero_f32 v255, vcc_hi, v2 :: v_dual_sub_f32 v7, exec_lo, v3
// GFX1250: v_dual_mul_dx9_zero_f32 v255, vcc_hi, v2 :: v_dual_sub_f32 v7, exec_lo, v3 ; encoding: [0x6b,0x50,0x1c,0xcf,0x7e,0x00,0x02,0x00,0xff,0x03,0x00,0x07]
// W64-ERR: :[[@LINE-2]]:1: error: instruction requires wavesize=32

v_dual_mul_dx9_zero_f32 v255, vcc_lo, v2 :: v_dual_sub_f32 v7, exec_hi, v3
// GFX1250: v_dual_mul_dx9_zero_f32 v255, vcc_lo, v2 :: v_dual_sub_f32 v7, exec_hi, v3 ; encoding: [0x6a,0x50,0x1c,0xcf,0x7f,0x00,0x02,0x00,0xff,0x03,0x00,0x07]
// W64-ERR: :[[@LINE-2]]:1: error: instruction requires wavesize=32

v_dual_mul_dx9_zero_f32 v255, src_scc, v2 :: v_dual_sub_f32 v7, -1, v3
// GFX1250: v_dual_mul_dx9_zero_f32 v255, src_scc, v2 :: v_dual_sub_f32 v7, -1, v3 ; encoding: [0xfd,0x50,0x1c,0xcf,0xc1,0x00,0x02,0x00,0xff,0x03,0x00,0x07]
// W64-ERR: :[[@LINE-2]]:1: error: instruction requires wavesize=32

v_dual_mul_dx9_zero_f32 v255, 0.5, v3 :: v_dual_sub_f32 v7, 0.5, v2
// GFX1250: v_dual_mul_dx9_zero_f32 v255, 0.5, v3 :: v_dual_sub_f32 v7, 0.5, v2 ; encoding: [0xf0,0x50,0x1c,0xcf,0xf0,0x00,0x03,0x00,0xff,0x02,0x00,0x07]
// W64-ERR: :[[@LINE-2]]:1: error: instruction requires wavesize=32

v_dual_mul_dx9_zero_f32 v255, -1, v4 :: v_dual_sub_f32 v7, src_scc, v5
// GFX1250: v_dual_mul_dx9_zero_f32 v255, -1, v4 :: v_dual_sub_f32 v7, src_scc, v5 ; encoding: [0xc1,0x50,0x1c,0xcf,0xfd,0x00,0x04,0x00,0xff,0x05,0x00,0x07]
// W64-ERR: :[[@LINE-2]]:1: error: instruction requires wavesize=32

v_dual_mul_dx9_zero_f32 v255, v4, v2 :: v_dual_subrev_f32 v7, v1, v3
// GFX1250: v_dual_mul_dx9_zero_f32 v255, v4, v2 :: v_dual_subrev_f32 v7, v1, v3 ; encoding: [0x04,0x61,0x1c,0xcf,0x01,0x01,0x02,0x00,0xff,0x03,0x00,0x07]
// W64-ERR: :[[@LINE-2]]:1: error: instruction requires wavesize=32

v_dual_mul_dx9_zero_f32 v255, v1, v2 :: v_dual_subrev_f32 v7, v255, v3
// GFX1250: v_dual_mul_dx9_zero_f32 v255, v1, v2 :: v_dual_subrev_f32 v7, v255, v3 ; encoding: [0x01,0x61,0x1c,0xcf,0xff,0x01,0x02,0x00,0xff,0x03,0x00,0x07]
	;; [unrolled: 4-line block ×7, first 2 shown]
// W64-ERR: :[[@LINE-2]]:1: error: instruction requires wavesize=32

v_dual_mul_dx9_zero_f32 v255, ttmp15, v2 :: v_dual_subrev_f32 v7, vcc_lo, v3
// GFX1250: v_dual_mul_dx9_zero_f32 v255, ttmp15, v2 :: v_dual_subrev_f32 v7, vcc_lo, v3 ; encoding: [0x7b,0x60,0x1c,0xcf,0x6a,0x00,0x02,0x00,0xff,0x03,0x00,0x07]
// W64-ERR: :[[@LINE-2]]:1: error: instruction requires wavesize=32

v_dual_mul_dx9_zero_f32 v255, exec_hi, v2 :: v_dual_subrev_f32 v7, vcc_hi, v3
// GFX1250: v_dual_mul_dx9_zero_f32 v255, exec_hi, v2 :: v_dual_subrev_f32 v7, vcc_hi, v3 ; encoding: [0x7f,0x60,0x1c,0xcf,0x6b,0x00,0x02,0x00,0xff,0x03,0x00,0x07]
// W64-ERR: :[[@LINE-2]]:1: error: instruction requires wavesize=32

v_dual_mul_dx9_zero_f32 v255, exec_lo, v2 :: v_dual_subrev_f32 v7, ttmp15, v3
// GFX1250: v_dual_mul_dx9_zero_f32 v255, exec_lo, v2 :: v_dual_subrev_f32 v7, ttmp15, v3 ; encoding: [0x7e,0x60,0x1c,0xcf,0x7b,0x00,0x02,0x00,0xff,0x03,0x00,0x07]
// W64-ERR: :[[@LINE-2]]:1: error: instruction requires wavesize=32

v_dual_mul_dx9_zero_f32 v255, m0, v2 :: v_dual_subrev_f32 v7, m0, v3
// GFX1250: v_dual_mul_dx9_zero_f32 v255, m0, v2 :: v_dual_subrev_f32 v7, m0, v3 ; encoding: [0x7d,0x60,0x1c,0xcf,0x7d,0x00,0x02,0x00,0xff,0x03,0x00,0x07]
// W64-ERR: :[[@LINE-2]]:1: error: instruction requires wavesize=32

v_dual_mul_dx9_zero_f32 v255, vcc_hi, v2 :: v_dual_subrev_f32 v7, exec_lo, v3
// GFX1250: v_dual_mul_dx9_zero_f32 v255, vcc_hi, v2 :: v_dual_subrev_f32 v7, exec_lo, v3 ; encoding: [0x6b,0x60,0x1c,0xcf,0x7e,0x00,0x02,0x00,0xff,0x03,0x00,0x07]
// W64-ERR: :[[@LINE-2]]:1: error: instruction requires wavesize=32

v_dual_mul_dx9_zero_f32 v255, vcc_lo, v2 :: v_dual_subrev_f32 v7, exec_hi, v3
// GFX1250: v_dual_mul_dx9_zero_f32 v255, vcc_lo, v2 :: v_dual_subrev_f32 v7, exec_hi, v3 ; encoding: [0x6a,0x60,0x1c,0xcf,0x7f,0x00,0x02,0x00,0xff,0x03,0x00,0x07]
// W64-ERR: :[[@LINE-2]]:1: error: instruction requires wavesize=32

v_dual_mul_dx9_zero_f32 v255, src_scc, v2 :: v_dual_subrev_f32 v7, -1, v3
// GFX1250: v_dual_mul_dx9_zero_f32 v255, src_scc, v2 :: v_dual_subrev_f32 v7, -1, v3 ; encoding: [0xfd,0x60,0x1c,0xcf,0xc1,0x00,0x02,0x00,0xff,0x03,0x00,0x07]
// W64-ERR: :[[@LINE-2]]:1: error: instruction requires wavesize=32

v_dual_mul_dx9_zero_f32 v255, 0.5, v3 :: v_dual_subrev_f32 v7, 0.5, v2
// GFX1250: v_dual_mul_dx9_zero_f32 v255, 0.5, v3 :: v_dual_subrev_f32 v7, 0.5, v2 ; encoding: [0xf0,0x60,0x1c,0xcf,0xf0,0x00,0x03,0x00,0xff,0x02,0x00,0x07]
// W64-ERR: :[[@LINE-2]]:1: error: instruction requires wavesize=32

v_dual_mul_dx9_zero_f32 v255, -1, v4 :: v_dual_subrev_f32 v7, src_scc, v5
// GFX1250: v_dual_mul_dx9_zero_f32 v255, -1, v4 :: v_dual_subrev_f32 v7, src_scc, v5 ; encoding: [0xc1,0x60,0x1c,0xcf,0xfd,0x00,0x04,0x00,0xff,0x05,0x00,0x07]
// W64-ERR: :[[@LINE-2]]:1: error: instruction requires wavesize=32

v_dual_mul_dx9_zero_f32 v255, v4, v2 :: v_dual_fma_f32 v7, v1, v3, v4
// GFX1250: v_dual_mul_dx9_zero_f32 v255, v4, v2 :: v_dual_fma_f32 v7, v1, v3, v4 ; encoding: [0x04,0x31,0x1d,0xcf,0x01,0x01,0x02,0x00,0xff,0x03,0x04,0x07]
// W64-ERR: :[[@LINE-2]]:1: error: instruction requires wavesize=32

v_dual_mul_dx9_zero_f32 v255, v4, v2 :: v_dual_bitop2_b32 v7, v1, v3 bitop3:0x11
// GFX1250: v_dual_mul_dx9_zero_f32 v255, v4, v2 :: v_dual_bitop2_b32 v7, v1, v3 bitop3:0x11 ; encoding: [0x04,0x21,0x1d,0xcf,0x01,0x01,0x02,0x00,0xff,0x03,0x11,0x07]
// W64-ERR: :[[@LINE-2]]:1: error: instruction requires wavesize=32

v_dual_mul_f32 v255, v4, v2 :: v_dual_add_f32 v7, v1, v3
// GFX1250: v_dual_mul_f32 v255, v4, v2 :: v_dual_add_f32 v7, v1, v3 ; encoding: [0x04,0x41,0x0c,0xcf,0x01,0x01,0x02,0x00,0xff,0x03,0x00,0x07]
// W64-ERR: :[[@LINE-2]]:1: error: instruction requires wavesize=32

v_dual_mul_f32 v255, v1, v2 :: v_dual_add_f32 v7, v255, v3
// GFX1250: v_dual_mul_f32 v255, v1, v2 :: v_dual_add_f32 v7, v255, v3 ; encoding: [0x01,0x41,0x0c,0xcf,0xff,0x01,0x02,0x00,0xff,0x03,0x00,0x07]
// W64-ERR: :[[@LINE-2]]:1: error: instruction requires wavesize=32

v_dual_mul_f32 v255, v255, v2 :: v_dual_add_f32 v7, v2, v3
// GFX1250: v_dual_mul_f32 v255, v255, v2 :: v_dual_add_f32 v7, v2, v3 ; encoding: [0xff,0x41,0x0c,0xcf,0x02,0x01,0x02,0x00,0xff,0x03,0x00,0x07]
// W64-ERR: :[[@LINE-2]]:1: error: instruction requires wavesize=32

v_dual_mul_f32 v255, v2, v2 :: v_dual_add_f32 v7, v3, v3
// GFX1250: v_dual_mul_f32 v255, v2, v2 :: v_dual_add_f32 v7, v3, v3 ; encoding: [0x02,0x41,0x0c,0xcf,0x03,0x01,0x02,0x00,0xff,0x03,0x00,0x07]
// W64-ERR: :[[@LINE-2]]:1: error: instruction requires wavesize=32

v_dual_mul_f32 v255, v3, v2 :: v_dual_add_f32 v7, v4, v3
// GFX1250: v_dual_mul_f32 v255, v3, v2 :: v_dual_add_f32 v7, v4, v3 ; encoding: [0x03,0x41,0x0c,0xcf,0x04,0x01,0x02,0x00,0xff,0x03,0x00,0x07]
// W64-ERR: :[[@LINE-2]]:1: error: instruction requires wavesize=32

v_dual_mul_f32 v255, s105, v2 :: v_dual_add_f32 v7, s1, v3
// GFX1250: v_dual_mul_f32 v255, s105, v2 :: v_dual_add_f32 v7, s1, v3 ; encoding: [0x69,0x40,0x0c,0xcf,0x01,0x00,0x02,0x00,0xff,0x03,0x00,0x07]
// W64-ERR: :[[@LINE-2]]:1: error: instruction requires wavesize=32

v_dual_mul_f32 v255, s1, v2 :: v_dual_add_f32 v7, s105, v3
// GFX1250: v_dual_mul_f32 v255, s1, v2 :: v_dual_add_f32 v7, s105, v3 ; encoding: [0x01,0x40,0x0c,0xcf,0x69,0x00,0x02,0x00,0xff,0x03,0x00,0x07]
// W64-ERR: :[[@LINE-2]]:1: error: instruction requires wavesize=32

v_dual_mul_f32 v255, ttmp15, v2 :: v_dual_add_f32 v7, vcc_lo, v3
// GFX1250: v_dual_mul_f32 v255, ttmp15, v2 :: v_dual_add_f32 v7, vcc_lo, v3 ; encoding: [0x7b,0x40,0x0c,0xcf,0x6a,0x00,0x02,0x00,0xff,0x03,0x00,0x07]
// W64-ERR: :[[@LINE-2]]:1: error: instruction requires wavesize=32

v_dual_mul_f32 v255, exec_hi, v2 :: v_dual_add_f32 v7, vcc_hi, v3
// GFX1250: v_dual_mul_f32 v255, exec_hi, v2 :: v_dual_add_f32 v7, vcc_hi, v3 ; encoding: [0x7f,0x40,0x0c,0xcf,0x6b,0x00,0x02,0x00,0xff,0x03,0x00,0x07]
// W64-ERR: :[[@LINE-2]]:1: error: instruction requires wavesize=32

v_dual_mul_f32 v255, exec_lo, v2 :: v_dual_add_f32 v7, ttmp15, v3
// GFX1250: v_dual_mul_f32 v255, exec_lo, v2 :: v_dual_add_f32 v7, ttmp15, v3 ; encoding: [0x7e,0x40,0x0c,0xcf,0x7b,0x00,0x02,0x00,0xff,0x03,0x00,0x07]
// W64-ERR: :[[@LINE-2]]:1: error: instruction requires wavesize=32

v_dual_mul_f32 v255, m0, v2 :: v_dual_add_f32 v7, m0, v3
// GFX1250: v_dual_mul_f32 v255, m0, v2 :: v_dual_add_f32 v7, m0, v3 ; encoding: [0x7d,0x40,0x0c,0xcf,0x7d,0x00,0x02,0x00,0xff,0x03,0x00,0x07]
// W64-ERR: :[[@LINE-2]]:1: error: instruction requires wavesize=32

v_dual_mul_f32 v255, vcc_hi, v2 :: v_dual_add_f32 v7, exec_lo, v3
// GFX1250: v_dual_mul_f32 v255, vcc_hi, v2 :: v_dual_add_f32 v7, exec_lo, v3 ; encoding: [0x6b,0x40,0x0c,0xcf,0x7e,0x00,0x02,0x00,0xff,0x03,0x00,0x07]
// W64-ERR: :[[@LINE-2]]:1: error: instruction requires wavesize=32

v_dual_mul_f32 v255, vcc_lo, v2 :: v_dual_add_f32 v7, exec_hi, v3
// GFX1250: v_dual_mul_f32 v255, vcc_lo, v2 :: v_dual_add_f32 v7, exec_hi, v3 ; encoding: [0x6a,0x40,0x0c,0xcf,0x7f,0x00,0x02,0x00,0xff,0x03,0x00,0x07]
// W64-ERR: :[[@LINE-2]]:1: error: instruction requires wavesize=32

v_dual_mul_f32 v255, src_scc, v2 :: v_dual_add_f32 v7, -1, v3
// GFX1250: v_dual_mul_f32 v255, src_scc, v2 :: v_dual_add_f32 v7, -1, v3 ; encoding: [0xfd,0x40,0x0c,0xcf,0xc1,0x00,0x02,0x00,0xff,0x03,0x00,0x07]
// W64-ERR: :[[@LINE-2]]:1: error: instruction requires wavesize=32

v_dual_mul_f32 v255, 0.5, v3 :: v_dual_add_f32 v7, 0.5, v2
// GFX1250: v_dual_mul_f32 v255, 0.5, v3 :: v_dual_add_f32 v7, 0.5, v2 ; encoding: [0xf0,0x40,0x0c,0xcf,0xf0,0x00,0x03,0x00,0xff,0x02,0x00,0x07]
// W64-ERR: :[[@LINE-2]]:1: error: instruction requires wavesize=32

v_dual_mul_f32 v255, -1, v4 :: v_dual_add_f32 v7, src_scc, v5
// GFX1250: v_dual_mul_f32 v255, -1, v4 :: v_dual_add_f32 v7, src_scc, v5 ; encoding: [0xc1,0x40,0x0c,0xcf,0xfd,0x00,0x04,0x00,0xff,0x05,0x00,0x07]
// W64-ERR: :[[@LINE-2]]:1: error: instruction requires wavesize=32

v_dual_mul_f32 v255, v4, v2 :: v_dual_add_nc_u32 v7, v1, v3
// GFX1250: v_dual_mul_f32 v255, v4, v2 :: v_dual_add_nc_u32 v7, v1, v3 ; encoding: [0x04,0x01,0x0d,0xcf,0x01,0x01,0x02,0x00,0xff,0x03,0x00,0x07]
// W64-ERR: :[[@LINE-2]]:1: error: instruction requires wavesize=32

v_dual_mul_f32 v255, v1, v2 :: v_dual_add_nc_u32 v7, v255, v3
// GFX1250: v_dual_mul_f32 v255, v1, v2 :: v_dual_add_nc_u32 v7, v255, v3 ; encoding: [0x01,0x01,0x0d,0xcf,0xff,0x01,0x02,0x00,0xff,0x03,0x00,0x07]
	;; [unrolled: 4-line block ×7, first 2 shown]
// W64-ERR: :[[@LINE-2]]:1: error: instruction requires wavesize=32

v_dual_mul_f32 v255, ttmp15, v2 :: v_dual_add_nc_u32 v7, vcc_lo, v3
// GFX1250: v_dual_mul_f32 v255, ttmp15, v2 :: v_dual_add_nc_u32 v7, vcc_lo, v3 ; encoding: [0x7b,0x00,0x0d,0xcf,0x6a,0x00,0x02,0x00,0xff,0x03,0x00,0x07]
// W64-ERR: :[[@LINE-2]]:1: error: instruction requires wavesize=32

v_dual_mul_f32 v255, exec_hi, v2 :: v_dual_add_nc_u32 v7, vcc_hi, v3
// GFX1250: v_dual_mul_f32 v255, exec_hi, v2 :: v_dual_add_nc_u32 v7, vcc_hi, v3 ; encoding: [0x7f,0x00,0x0d,0xcf,0x6b,0x00,0x02,0x00,0xff,0x03,0x00,0x07]
// W64-ERR: :[[@LINE-2]]:1: error: instruction requires wavesize=32

v_dual_mul_f32 v255, exec_lo, v2 :: v_dual_add_nc_u32 v7, ttmp15, v3
// GFX1250: v_dual_mul_f32 v255, exec_lo, v2 :: v_dual_add_nc_u32 v7, ttmp15, v3 ; encoding: [0x7e,0x00,0x0d,0xcf,0x7b,0x00,0x02,0x00,0xff,0x03,0x00,0x07]
// W64-ERR: :[[@LINE-2]]:1: error: instruction requires wavesize=32

v_dual_mul_f32 v255, m0, v2 :: v_dual_add_nc_u32 v7, m0, v3
// GFX1250: v_dual_mul_f32 v255, m0, v2 :: v_dual_add_nc_u32 v7, m0, v3 ; encoding: [0x7d,0x00,0x0d,0xcf,0x7d,0x00,0x02,0x00,0xff,0x03,0x00,0x07]
// W64-ERR: :[[@LINE-2]]:1: error: instruction requires wavesize=32

v_dual_mul_f32 v255, vcc_hi, v2 :: v_dual_add_nc_u32 v7, exec_lo, v3
// GFX1250: v_dual_mul_f32 v255, vcc_hi, v2 :: v_dual_add_nc_u32 v7, exec_lo, v3 ; encoding: [0x6b,0x00,0x0d,0xcf,0x7e,0x00,0x02,0x00,0xff,0x03,0x00,0x07]
// W64-ERR: :[[@LINE-2]]:1: error: instruction requires wavesize=32

v_dual_mul_f32 v255, vcc_lo, v2 :: v_dual_add_nc_u32 v7, exec_hi, v3
// GFX1250: v_dual_mul_f32 v255, vcc_lo, v2 :: v_dual_add_nc_u32 v7, exec_hi, v3 ; encoding: [0x6a,0x00,0x0d,0xcf,0x7f,0x00,0x02,0x00,0xff,0x03,0x00,0x07]
// W64-ERR: :[[@LINE-2]]:1: error: instruction requires wavesize=32

v_dual_mul_f32 v255, src_scc, v2 :: v_dual_add_nc_u32 v7, -1, v3
// GFX1250: v_dual_mul_f32 v255, src_scc, v2 :: v_dual_add_nc_u32 v7, -1, v3 ; encoding: [0xfd,0x00,0x0d,0xcf,0xc1,0x00,0x02,0x00,0xff,0x03,0x00,0x07]
// W64-ERR: :[[@LINE-2]]:1: error: instruction requires wavesize=32

v_dual_mul_f32 v255, 0.5, v3 :: v_dual_add_nc_u32 v7, 0.5, v2
// GFX1250: v_dual_mul_f32 v255, 0.5, v3 :: v_dual_add_nc_u32 v7, 0.5, v2 ; encoding: [0xf0,0x00,0x0d,0xcf,0xf0,0x00,0x03,0x00,0xff,0x02,0x00,0x07]
// W64-ERR: :[[@LINE-2]]:1: error: instruction requires wavesize=32

v_dual_mul_f32 v255, -1, v4 :: v_dual_add_nc_u32 v7, src_scc, v5
// GFX1250: v_dual_mul_f32 v255, -1, v4 :: v_dual_add_nc_u32 v7, src_scc, v5 ; encoding: [0xc1,0x00,0x0d,0xcf,0xfd,0x00,0x04,0x00,0xff,0x05,0x00,0x07]
// W64-ERR: :[[@LINE-2]]:1: error: instruction requires wavesize=32

v_dual_mul_f32 v255, v4, v2 :: v_dual_cndmask_b32 v7, v1, v3, vcc_lo
// GFX1250: v_dual_mul_f32 v255, v4, v2 :: v_dual_cndmask_b32 v7, v1, v3, vcc_lo ; encoding: [0x04,0x91,0x0c,0xcf,0x01,0x01,0x02,0x00,0xff,0x03,0x6a,0x07]
// W64-ERR: :[[@LINE-2]]:1: error: instruction requires wavesize=32

v_dual_mul_f32 v255, v1, v2 :: v_dual_cndmask_b32 v7, v255, v3, vcc_lo
// GFX1250: v_dual_mul_f32 v255, v1, v2 :: v_dual_cndmask_b32 v7, v255, v3, vcc_lo ; encoding: [0x01,0x91,0x0c,0xcf,0xff,0x01,0x02,0x00,0xff,0x03,0x6a,0x07]
	;; [unrolled: 4-line block ×7, first 2 shown]
// W64-ERR: :[[@LINE-2]]:1: error: instruction requires wavesize=32

v_dual_mul_f32 v255, ttmp15, v2 :: v_dual_cndmask_b32 v7, ttmp15, v3, vcc_lo
// GFX1250: v_dual_mul_f32 v255, ttmp15, v2 :: v_dual_cndmask_b32 v7, ttmp15, v3, vcc_lo ; encoding: [0x7b,0x90,0x0c,0xcf,0x7b,0x00,0x02,0x00,0xff,0x03,0x6a,0x07]
// W64-ERR: :[[@LINE-2]]:1: error: instruction requires wavesize=32

v_dual_mul_f32 v255, exec_hi, v2 :: v_dual_cndmask_b32 v7, exec_hi, v3, vcc_lo
// GFX1250: v_dual_mul_f32 v255, exec_hi, v2 :: v_dual_cndmask_b32 v7, exec_hi, v3, vcc_lo ; encoding: [0x7f,0x90,0x0c,0xcf,0x7f,0x00,0x02,0x00,0xff,0x03,0x6a,0x07]
// W64-ERR: :[[@LINE-2]]:1: error: instruction requires wavesize=32

v_dual_mul_f32 v255, exec_lo, v2 :: v_dual_cndmask_b32 v7, exec_lo, v3, vcc_lo
// GFX1250: v_dual_mul_f32 v255, exec_lo, v2 :: v_dual_cndmask_b32 v7, exec_lo, v3, vcc_lo ; encoding: [0x7e,0x90,0x0c,0xcf,0x7e,0x00,0x02,0x00,0xff,0x03,0x6a,0x07]
// W64-ERR: :[[@LINE-2]]:1: error: instruction requires wavesize=32

v_dual_mul_f32 v255, m0, v2 :: v_dual_cndmask_b32 v7, m0, v3, vcc_lo
// GFX1250: v_dual_mul_f32 v255, m0, v2 :: v_dual_cndmask_b32 v7, m0, v3, vcc_lo ; encoding: [0x7d,0x90,0x0c,0xcf,0x7d,0x00,0x02,0x00,0xff,0x03,0x6a,0x07]
// W64-ERR: :[[@LINE-2]]:1: error: instruction requires wavesize=32

v_dual_mul_f32 v255, vcc_hi, v2 :: v_dual_cndmask_b32 v7, vcc_hi, v3, vcc_lo
// GFX1250: v_dual_mul_f32 v255, vcc_hi, v2 :: v_dual_cndmask_b32 v7, vcc_hi, v3, vcc_lo ; encoding: [0x6b,0x90,0x0c,0xcf,0x6b,0x00,0x02,0x00,0xff,0x03,0x6a,0x07]
// W64-ERR: :[[@LINE-2]]:1: error: instruction requires wavesize=32

v_dual_mul_f32 v255, vcc_lo, v2 :: v_dual_cndmask_b32 v7, vcc_lo, v3, vcc_lo
// GFX1250: v_dual_mul_f32 v255, vcc_lo, v2 :: v_dual_cndmask_b32 v7, vcc_lo, v3, vcc_lo ; encoding: [0x6a,0x90,0x0c,0xcf,0x6a,0x00,0x02,0x00,0xff,0x03,0x6a,0x07]
// W64-ERR: :[[@LINE-2]]:1: error: instruction requires wavesize=32

v_dual_mul_f32 v255, src_scc, v2 :: v_dual_cndmask_b32 v7, -1, v3, vcc_lo
// GFX1250: v_dual_mul_f32 v255, src_scc, v2 :: v_dual_cndmask_b32 v7, -1, v3, vcc_lo ; encoding: [0xfd,0x90,0x0c,0xcf,0xc1,0x00,0x02,0x00,0xff,0x03,0x6a,0x07]
// W64-ERR: :[[@LINE-2]]:1: error: instruction requires wavesize=32

v_dual_mul_f32 v255, 0.5, v3 :: v_dual_cndmask_b32 v7, 0.5, v2, vcc_lo
// GFX1250: v_dual_mul_f32 v255, 0.5, v3 :: v_dual_cndmask_b32 v7, 0.5, v2, vcc_lo ; encoding: [0xf0,0x90,0x0c,0xcf,0xf0,0x00,0x03,0x00,0xff,0x02,0x6a,0x07]
// W64-ERR: :[[@LINE-2]]:1: error: instruction requires wavesize=32

v_dual_mul_f32 v255, -1, v4 :: v_dual_cndmask_b32 v7, src_scc, v5, vcc_lo
// GFX1250: v_dual_mul_f32 v255, -1, v4 :: v_dual_cndmask_b32 v7, src_scc, v5, vcc_lo ; encoding: [0xc1,0x90,0x0c,0xcf,0xfd,0x00,0x04,0x00,0xff,0x05,0x6a,0x07]
// W64-ERR: :[[@LINE-2]]:1: error: instruction requires wavesize=32

v_dual_mul_f32 v255, v4, v2 :: v_dual_fmac_f32 v7, v1, v3
// GFX1250: v_dual_mul_f32 v255, v4, v2 :: v_dual_fmac_f32 v7, v1, v3 ; encoding: [0x04,0x01,0x0c,0xcf,0x01,0x01,0x02,0x00,0xff,0x03,0x00,0x07]
// W64-ERR: :[[@LINE-2]]:1: error: instruction requires wavesize=32

v_dual_mul_f32 v255, v1, v2 :: v_dual_fmac_f32 v7, v255, v3
// GFX1250: v_dual_mul_f32 v255, v1, v2 :: v_dual_fmac_f32 v7, v255, v3 ; encoding: [0x01,0x01,0x0c,0xcf,0xff,0x01,0x02,0x00,0xff,0x03,0x00,0x07]
	;; [unrolled: 4-line block ×7, first 2 shown]
// W64-ERR: :[[@LINE-2]]:1: error: instruction requires wavesize=32

v_dual_mul_f32 v255, ttmp15, v2 :: v_dual_fmac_f32 v7, vcc_lo, v3
// GFX1250: v_dual_mul_f32 v255, ttmp15, v2 :: v_dual_fmac_f32 v7, vcc_lo, v3 ; encoding: [0x7b,0x00,0x0c,0xcf,0x6a,0x00,0x02,0x00,0xff,0x03,0x00,0x07]
// W64-ERR: :[[@LINE-2]]:1: error: instruction requires wavesize=32

v_dual_mul_f32 v255, exec_hi, v2 :: v_dual_fmac_f32 v7, vcc_hi, v3
// GFX1250: v_dual_mul_f32 v255, exec_hi, v2 :: v_dual_fmac_f32 v7, vcc_hi, v3 ; encoding: [0x7f,0x00,0x0c,0xcf,0x6b,0x00,0x02,0x00,0xff,0x03,0x00,0x07]
// W64-ERR: :[[@LINE-2]]:1: error: instruction requires wavesize=32

v_dual_mul_f32 v255, exec_lo, v2 :: v_dual_fmac_f32 v7, ttmp15, v3
// GFX1250: v_dual_mul_f32 v255, exec_lo, v2 :: v_dual_fmac_f32 v7, ttmp15, v3 ; encoding: [0x7e,0x00,0x0c,0xcf,0x7b,0x00,0x02,0x00,0xff,0x03,0x00,0x07]
// W64-ERR: :[[@LINE-2]]:1: error: instruction requires wavesize=32

v_dual_mul_f32 v255, m0, v2 :: v_dual_fmac_f32 v7, m0, v3
// GFX1250: v_dual_mul_f32 v255, m0, v2 :: v_dual_fmac_f32 v7, m0, v3 ; encoding: [0x7d,0x00,0x0c,0xcf,0x7d,0x00,0x02,0x00,0xff,0x03,0x00,0x07]
// W64-ERR: :[[@LINE-2]]:1: error: instruction requires wavesize=32

v_dual_mul_f32 v255, vcc_hi, v2 :: v_dual_fmac_f32 v7, exec_lo, v3
// GFX1250: v_dual_mul_f32 v255, vcc_hi, v2 :: v_dual_fmac_f32 v7, exec_lo, v3 ; encoding: [0x6b,0x00,0x0c,0xcf,0x7e,0x00,0x02,0x00,0xff,0x03,0x00,0x07]
// W64-ERR: :[[@LINE-2]]:1: error: instruction requires wavesize=32

v_dual_mul_f32 v255, vcc_lo, v2 :: v_dual_fmac_f32 v7, exec_hi, v3
// GFX1250: v_dual_mul_f32 v255, vcc_lo, v2 :: v_dual_fmac_f32 v7, exec_hi, v3 ; encoding: [0x6a,0x00,0x0c,0xcf,0x7f,0x00,0x02,0x00,0xff,0x03,0x00,0x07]
// W64-ERR: :[[@LINE-2]]:1: error: instruction requires wavesize=32

v_dual_mul_f32 v255, src_scc, v2 :: v_dual_fmac_f32 v7, -1, v3
// GFX1250: v_dual_mul_f32 v255, src_scc, v2 :: v_dual_fmac_f32 v7, -1, v3 ; encoding: [0xfd,0x00,0x0c,0xcf,0xc1,0x00,0x02,0x00,0xff,0x03,0x00,0x07]
// W64-ERR: :[[@LINE-2]]:1: error: instruction requires wavesize=32

v_dual_mul_f32 v255, 0.5, v3 :: v_dual_fmac_f32 v7, 0.5, v2
// GFX1250: v_dual_mul_f32 v255, 0.5, v3 :: v_dual_fmac_f32 v7, 0.5, v2 ; encoding: [0xf0,0x00,0x0c,0xcf,0xf0,0x00,0x03,0x00,0xff,0x02,0x00,0x07]
// W64-ERR: :[[@LINE-2]]:1: error: instruction requires wavesize=32

v_dual_mul_f32 v255, -1, v4 :: v_dual_fmac_f32 v7, src_scc, v5
// GFX1250: v_dual_mul_f32 v255, -1, v4 :: v_dual_fmac_f32 v7, src_scc, v5 ; encoding: [0xc1,0x00,0x0c,0xcf,0xfd,0x00,0x04,0x00,0xff,0x05,0x00,0x07]
// W64-ERR: :[[@LINE-2]]:1: error: instruction requires wavesize=32

v_dual_mul_f32 v255, v4, v2 :: v_dual_lshlrev_b32 v7, v1, v3
// GFX1250: v_dual_mul_f32 v255, v4, v2 :: v_dual_lshlrev_b32 v7, v1, v3 ; encoding: [0x04,0x11,0x0d,0xcf,0x01,0x01,0x02,0x00,0xff,0x03,0x00,0x07]
// W64-ERR: :[[@LINE-2]]:1: error: instruction requires wavesize=32

v_dual_mul_f32 v255, v1, v2 :: v_dual_lshlrev_b32 v7, v255, v3
// GFX1250: v_dual_mul_f32 v255, v1, v2 :: v_dual_lshlrev_b32 v7, v255, v3 ; encoding: [0x01,0x11,0x0d,0xcf,0xff,0x01,0x02,0x00,0xff,0x03,0x00,0x07]
	;; [unrolled: 4-line block ×7, first 2 shown]
// W64-ERR: :[[@LINE-2]]:1: error: instruction requires wavesize=32

v_dual_mul_f32 v255, ttmp15, v2 :: v_dual_lshlrev_b32 v7, vcc_lo, v3
// GFX1250: v_dual_mul_f32 v255, ttmp15, v2 :: v_dual_lshlrev_b32 v7, vcc_lo, v3 ; encoding: [0x7b,0x10,0x0d,0xcf,0x6a,0x00,0x02,0x00,0xff,0x03,0x00,0x07]
// W64-ERR: :[[@LINE-2]]:1: error: instruction requires wavesize=32

v_dual_mul_f32 v255, exec_hi, v2 :: v_dual_lshlrev_b32 v7, vcc_hi, v3
// GFX1250: v_dual_mul_f32 v255, exec_hi, v2 :: v_dual_lshlrev_b32 v7, vcc_hi, v3 ; encoding: [0x7f,0x10,0x0d,0xcf,0x6b,0x00,0x02,0x00,0xff,0x03,0x00,0x07]
// W64-ERR: :[[@LINE-2]]:1: error: instruction requires wavesize=32

v_dual_mul_f32 v255, exec_lo, v2 :: v_dual_lshlrev_b32 v7, ttmp15, v3
// GFX1250: v_dual_mul_f32 v255, exec_lo, v2 :: v_dual_lshlrev_b32 v7, ttmp15, v3 ; encoding: [0x7e,0x10,0x0d,0xcf,0x7b,0x00,0x02,0x00,0xff,0x03,0x00,0x07]
// W64-ERR: :[[@LINE-2]]:1: error: instruction requires wavesize=32

v_dual_mul_f32 v255, m0, v2 :: v_dual_lshlrev_b32 v7, m0, v3
// GFX1250: v_dual_mul_f32 v255, m0, v2 :: v_dual_lshlrev_b32 v7, m0, v3 ; encoding: [0x7d,0x10,0x0d,0xcf,0x7d,0x00,0x02,0x00,0xff,0x03,0x00,0x07]
// W64-ERR: :[[@LINE-2]]:1: error: instruction requires wavesize=32

v_dual_mul_f32 v255, vcc_hi, v2 :: v_dual_lshlrev_b32 v7, exec_lo, v3
// GFX1250: v_dual_mul_f32 v255, vcc_hi, v2 :: v_dual_lshlrev_b32 v7, exec_lo, v3 ; encoding: [0x6b,0x10,0x0d,0xcf,0x7e,0x00,0x02,0x00,0xff,0x03,0x00,0x07]
// W64-ERR: :[[@LINE-2]]:1: error: instruction requires wavesize=32

v_dual_mul_f32 v255, vcc_lo, v2 :: v_dual_lshlrev_b32 v7, exec_hi, v3
// GFX1250: v_dual_mul_f32 v255, vcc_lo, v2 :: v_dual_lshlrev_b32 v7, exec_hi, v3 ; encoding: [0x6a,0x10,0x0d,0xcf,0x7f,0x00,0x02,0x00,0xff,0x03,0x00,0x07]
// W64-ERR: :[[@LINE-2]]:1: error: instruction requires wavesize=32

v_dual_mul_f32 v255, src_scc, v2 :: v_dual_lshlrev_b32 v7, -1, v3
// GFX1250: v_dual_mul_f32 v255, src_scc, v2 :: v_dual_lshlrev_b32 v7, -1, v3 ; encoding: [0xfd,0x10,0x0d,0xcf,0xc1,0x00,0x02,0x00,0xff,0x03,0x00,0x07]
// W64-ERR: :[[@LINE-2]]:1: error: instruction requires wavesize=32

v_dual_mul_f32 v255, 0.5, v3 :: v_dual_lshlrev_b32 v7, 0.5, v2
// GFX1250: v_dual_mul_f32 v255, 0.5, v3 :: v_dual_lshlrev_b32 v7, 0.5, v2 ; encoding: [0xf0,0x10,0x0d,0xcf,0xf0,0x00,0x03,0x00,0xff,0x02,0x00,0x07]
// W64-ERR: :[[@LINE-2]]:1: error: instruction requires wavesize=32

v_dual_mul_f32 v255, -1, v4 :: v_dual_lshlrev_b32 v7, src_scc, v5
// GFX1250: v_dual_mul_f32 v255, -1, v4 :: v_dual_lshlrev_b32 v7, src_scc, v5 ; encoding: [0xc1,0x10,0x0d,0xcf,0xfd,0x00,0x04,0x00,0xff,0x05,0x00,0x07]
// W64-ERR: :[[@LINE-2]]:1: error: instruction requires wavesize=32

v_dual_mul_f32 v255, v4, v2 :: v_dual_max_num_f32 v7, v1, v3
// GFX1250: v_dual_mul_f32 v255, v4, v2 :: v_dual_max_num_f32 v7, v1, v3 ; encoding: [0x04,0xa1,0x0c,0xcf,0x01,0x01,0x02,0x00,0xff,0x03,0x00,0x07]
// W64-ERR: :[[@LINE-2]]:1: error: instruction requires wavesize=32

v_dual_mul_f32 v255, v1, v2 :: v_dual_max_num_f32 v7, v255, v3
// GFX1250: v_dual_mul_f32 v255, v1, v2 :: v_dual_max_num_f32 v7, v255, v3 ; encoding: [0x01,0xa1,0x0c,0xcf,0xff,0x01,0x02,0x00,0xff,0x03,0x00,0x07]
	;; [unrolled: 4-line block ×7, first 2 shown]
// W64-ERR: :[[@LINE-2]]:1: error: instruction requires wavesize=32

v_dual_mul_f32 v255, ttmp15, v2 :: v_dual_max_num_f32 v7, vcc_lo, v3
// GFX1250: v_dual_mul_f32 v255, ttmp15, v2 :: v_dual_max_num_f32 v7, vcc_lo, v3 ; encoding: [0x7b,0xa0,0x0c,0xcf,0x6a,0x00,0x02,0x00,0xff,0x03,0x00,0x07]
// W64-ERR: :[[@LINE-2]]:1: error: instruction requires wavesize=32

v_dual_mul_f32 v255, exec_hi, v2 :: v_dual_max_num_f32 v7, vcc_hi, v3
// GFX1250: v_dual_mul_f32 v255, exec_hi, v2 :: v_dual_max_num_f32 v7, vcc_hi, v3 ; encoding: [0x7f,0xa0,0x0c,0xcf,0x6b,0x00,0x02,0x00,0xff,0x03,0x00,0x07]
// W64-ERR: :[[@LINE-2]]:1: error: instruction requires wavesize=32

v_dual_mul_f32 v255, exec_lo, v2 :: v_dual_max_num_f32 v7, ttmp15, v3
// GFX1250: v_dual_mul_f32 v255, exec_lo, v2 :: v_dual_max_num_f32 v7, ttmp15, v3 ; encoding: [0x7e,0xa0,0x0c,0xcf,0x7b,0x00,0x02,0x00,0xff,0x03,0x00,0x07]
// W64-ERR: :[[@LINE-2]]:1: error: instruction requires wavesize=32

v_dual_mul_f32 v255, m0, v2 :: v_dual_max_num_f32 v7, m0, v3
// GFX1250: v_dual_mul_f32 v255, m0, v2 :: v_dual_max_num_f32 v7, m0, v3 ; encoding: [0x7d,0xa0,0x0c,0xcf,0x7d,0x00,0x02,0x00,0xff,0x03,0x00,0x07]
// W64-ERR: :[[@LINE-2]]:1: error: instruction requires wavesize=32

v_dual_mul_f32 v255, vcc_hi, v2 :: v_dual_max_num_f32 v7, exec_lo, v3
// GFX1250: v_dual_mul_f32 v255, vcc_hi, v2 :: v_dual_max_num_f32 v7, exec_lo, v3 ; encoding: [0x6b,0xa0,0x0c,0xcf,0x7e,0x00,0x02,0x00,0xff,0x03,0x00,0x07]
// W64-ERR: :[[@LINE-2]]:1: error: instruction requires wavesize=32

v_dual_mul_f32 v255, vcc_lo, v2 :: v_dual_max_num_f32 v7, exec_hi, v3
// GFX1250: v_dual_mul_f32 v255, vcc_lo, v2 :: v_dual_max_num_f32 v7, exec_hi, v3 ; encoding: [0x6a,0xa0,0x0c,0xcf,0x7f,0x00,0x02,0x00,0xff,0x03,0x00,0x07]
// W64-ERR: :[[@LINE-2]]:1: error: instruction requires wavesize=32

v_dual_mul_f32 v255, src_scc, v2 :: v_dual_max_num_f32 v7, -1, v3
// GFX1250: v_dual_mul_f32 v255, src_scc, v2 :: v_dual_max_num_f32 v7, -1, v3 ; encoding: [0xfd,0xa0,0x0c,0xcf,0xc1,0x00,0x02,0x00,0xff,0x03,0x00,0x07]
// W64-ERR: :[[@LINE-2]]:1: error: instruction requires wavesize=32

v_dual_mul_f32 v255, 0.5, v3 :: v_dual_max_num_f32 v7, 0.5, v2
// GFX1250: v_dual_mul_f32 v255, 0.5, v3 :: v_dual_max_num_f32 v7, 0.5, v2 ; encoding: [0xf0,0xa0,0x0c,0xcf,0xf0,0x00,0x03,0x00,0xff,0x02,0x00,0x07]
// W64-ERR: :[[@LINE-2]]:1: error: instruction requires wavesize=32

v_dual_mul_f32 v255, -1, v4 :: v_dual_max_num_f32 v7, src_scc, v5
// GFX1250: v_dual_mul_f32 v255, -1, v4 :: v_dual_max_num_f32 v7, src_scc, v5 ; encoding: [0xc1,0xa0,0x0c,0xcf,0xfd,0x00,0x04,0x00,0xff,0x05,0x00,0x07]
// W64-ERR: :[[@LINE-2]]:1: error: instruction requires wavesize=32

v_dual_mul_f32 v255, v4, v2 :: v_dual_min_num_f32 v7, v1, v3
// GFX1250: v_dual_mul_f32 v255, v4, v2 :: v_dual_min_num_f32 v7, v1, v3 ; encoding: [0x04,0xb1,0x0c,0xcf,0x01,0x01,0x02,0x00,0xff,0x03,0x00,0x07]
// W64-ERR: :[[@LINE-2]]:1: error: instruction requires wavesize=32

v_dual_mul_f32 v255, v1, v2 :: v_dual_min_num_f32 v7, v255, v3
// GFX1250: v_dual_mul_f32 v255, v1, v2 :: v_dual_min_num_f32 v7, v255, v3 ; encoding: [0x01,0xb1,0x0c,0xcf,0xff,0x01,0x02,0x00,0xff,0x03,0x00,0x07]
// W64-ERR: :[[@LINE-2]]:1: error: instruction requires wavesize=32

v_dual_mul_f32 v255, v255, v2 :: v_dual_min_num_f32 v7, v2, v3
// GFX1250: v_dual_mul_f32 v255, v255, v2 :: v_dual_min_num_f32 v7, v2, v3 ; encoding: [0xff,0xb1,0x0c,0xcf,0x02,0x01,0x02,0x00,0xff,0x03,0x00,0x07]
// W64-ERR: :[[@LINE-2]]:1: error: instruction requires wavesize=32

v_dual_mul_f32 v255, v2, v2 :: v_dual_min_num_f32 v7, v3, v3
// GFX1250: v_dual_mul_f32 v255, v2, v2 :: v_dual_min_num_f32 v7, v3, v3 ; encoding: [0x02,0xb1,0x0c,0xcf,0x03,0x01,0x02,0x00,0xff,0x03,0x00,0x07]
// W64-ERR: :[[@LINE-2]]:1: error: instruction requires wavesize=32

v_dual_mul_f32 v255, v3, v2 :: v_dual_min_num_f32 v7, v4, v3
// GFX1250: v_dual_mul_f32 v255, v3, v2 :: v_dual_min_num_f32 v7, v4, v3 ; encoding: [0x03,0xb1,0x0c,0xcf,0x04,0x01,0x02,0x00,0xff,0x03,0x00,0x07]
// W64-ERR: :[[@LINE-2]]:1: error: instruction requires wavesize=32

v_dual_mul_f32 v255, s105, v2 :: v_dual_min_num_f32 v7, s1, v3
// GFX1250: v_dual_mul_f32 v255, s105, v2 :: v_dual_min_num_f32 v7, s1, v3 ; encoding: [0x69,0xb0,0x0c,0xcf,0x01,0x00,0x02,0x00,0xff,0x03,0x00,0x07]
// W64-ERR: :[[@LINE-2]]:1: error: instruction requires wavesize=32

v_dual_mul_f32 v255, s1, v2 :: v_dual_min_num_f32 v7, s105, v3
// GFX1250: v_dual_mul_f32 v255, s1, v2 :: v_dual_min_num_f32 v7, s105, v3 ; encoding: [0x01,0xb0,0x0c,0xcf,0x69,0x00,0x02,0x00,0xff,0x03,0x00,0x07]
// W64-ERR: :[[@LINE-2]]:1: error: instruction requires wavesize=32

v_dual_mul_f32 v255, ttmp15, v2 :: v_dual_min_num_f32 v7, vcc_lo, v3
// GFX1250: v_dual_mul_f32 v255, ttmp15, v2 :: v_dual_min_num_f32 v7, vcc_lo, v3 ; encoding: [0x7b,0xb0,0x0c,0xcf,0x6a,0x00,0x02,0x00,0xff,0x03,0x00,0x07]
// W64-ERR: :[[@LINE-2]]:1: error: instruction requires wavesize=32

v_dual_mul_f32 v255, exec_hi, v2 :: v_dual_min_num_f32 v7, vcc_hi, v3
// GFX1250: v_dual_mul_f32 v255, exec_hi, v2 :: v_dual_min_num_f32 v7, vcc_hi, v3 ; encoding: [0x7f,0xb0,0x0c,0xcf,0x6b,0x00,0x02,0x00,0xff,0x03,0x00,0x07]
// W64-ERR: :[[@LINE-2]]:1: error: instruction requires wavesize=32

v_dual_mul_f32 v255, exec_lo, v2 :: v_dual_min_num_f32 v7, ttmp15, v3
// GFX1250: v_dual_mul_f32 v255, exec_lo, v2 :: v_dual_min_num_f32 v7, ttmp15, v3 ; encoding: [0x7e,0xb0,0x0c,0xcf,0x7b,0x00,0x02,0x00,0xff,0x03,0x00,0x07]
// W64-ERR: :[[@LINE-2]]:1: error: instruction requires wavesize=32

v_dual_mul_f32 v255, m0, v2 :: v_dual_min_num_f32 v7, m0, v3
// GFX1250: v_dual_mul_f32 v255, m0, v2 :: v_dual_min_num_f32 v7, m0, v3 ; encoding: [0x7d,0xb0,0x0c,0xcf,0x7d,0x00,0x02,0x00,0xff,0x03,0x00,0x07]
// W64-ERR: :[[@LINE-2]]:1: error: instruction requires wavesize=32

v_dual_mul_f32 v255, vcc_hi, v2 :: v_dual_min_num_f32 v7, exec_lo, v3
// GFX1250: v_dual_mul_f32 v255, vcc_hi, v2 :: v_dual_min_num_f32 v7, exec_lo, v3 ; encoding: [0x6b,0xb0,0x0c,0xcf,0x7e,0x00,0x02,0x00,0xff,0x03,0x00,0x07]
// W64-ERR: :[[@LINE-2]]:1: error: instruction requires wavesize=32

v_dual_mul_f32 v255, vcc_lo, v2 :: v_dual_min_num_f32 v7, exec_hi, v3
// GFX1250: v_dual_mul_f32 v255, vcc_lo, v2 :: v_dual_min_num_f32 v7, exec_hi, v3 ; encoding: [0x6a,0xb0,0x0c,0xcf,0x7f,0x00,0x02,0x00,0xff,0x03,0x00,0x07]
// W64-ERR: :[[@LINE-2]]:1: error: instruction requires wavesize=32

v_dual_mul_f32 v255, src_scc, v2 :: v_dual_min_num_f32 v7, -1, v3
// GFX1250: v_dual_mul_f32 v255, src_scc, v2 :: v_dual_min_num_f32 v7, -1, v3 ; encoding: [0xfd,0xb0,0x0c,0xcf,0xc1,0x00,0x02,0x00,0xff,0x03,0x00,0x07]
// W64-ERR: :[[@LINE-2]]:1: error: instruction requires wavesize=32

v_dual_mul_f32 v255, 0.5, v3 :: v_dual_min_num_f32 v7, 0.5, v2
// GFX1250: v_dual_mul_f32 v255, 0.5, v3 :: v_dual_min_num_f32 v7, 0.5, v2 ; encoding: [0xf0,0xb0,0x0c,0xcf,0xf0,0x00,0x03,0x00,0xff,0x02,0x00,0x07]
// W64-ERR: :[[@LINE-2]]:1: error: instruction requires wavesize=32

v_dual_mul_f32 v255, -1, v4 :: v_dual_min_num_f32 v7, src_scc, v5
// GFX1250: v_dual_mul_f32 v255, -1, v4 :: v_dual_min_num_f32 v7, src_scc, v5 ; encoding: [0xc1,0xb0,0x0c,0xcf,0xfd,0x00,0x04,0x00,0xff,0x05,0x00,0x07]
// W64-ERR: :[[@LINE-2]]:1: error: instruction requires wavesize=32

v_dual_mul_f32 v255, v4, v255 :: v_dual_mov_b32 v7, v1
// GFX1250: v_dual_mul_f32 v255, v4, v255 :: v_dual_mov_b32 v7, v1 ; encoding: [0x04,0x81,0x0c,0xcf,0x01,0x01,0xff,0x00,0xff,0x00,0x00,0x07]
// W64-ERR: :[[@LINE-2]]:1: error: instruction requires wavesize=32

v_dual_mul_f32 v255, v1, v255 :: v_dual_mov_b32 v7, v255
// GFX1250: v_dual_mul_f32 v255, v1, v255 :: v_dual_mov_b32 v7, v255 ; encoding: [0x01,0x81,0x0c,0xcf,0xff,0x01,0xff,0x00,0xff,0x00,0x00,0x07]
	;; [unrolled: 4-line block ×7, first 2 shown]
// W64-ERR: :[[@LINE-2]]:1: error: instruction requires wavesize=32

v_dual_mul_f32 v255, ttmp15, v255 :: v_dual_mov_b32 v7, vcc_lo
// GFX1250: v_dual_mul_f32 v255, ttmp15, v255 :: v_dual_mov_b32 v7, vcc_lo ; encoding: [0x7b,0x80,0x0c,0xcf,0x6a,0x00,0xff,0x00,0xff,0x00,0x00,0x07]
// W64-ERR: :[[@LINE-2]]:1: error: instruction requires wavesize=32

v_dual_mul_f32 v255, exec_hi, v255 :: v_dual_mov_b32 v7, vcc_hi
// GFX1250: v_dual_mul_f32 v255, exec_hi, v255 :: v_dual_mov_b32 v7, vcc_hi ; encoding: [0x7f,0x80,0x0c,0xcf,0x6b,0x00,0xff,0x00,0xff,0x00,0x00,0x07]
// W64-ERR: :[[@LINE-2]]:1: error: instruction requires wavesize=32

v_dual_mul_f32 v255, exec_lo, v255 :: v_dual_mov_b32 v7, ttmp15
// GFX1250: v_dual_mul_f32 v255, exec_lo, v255 :: v_dual_mov_b32 v7, ttmp15 ; encoding: [0x7e,0x80,0x0c,0xcf,0x7b,0x00,0xff,0x00,0xff,0x00,0x00,0x07]
// W64-ERR: :[[@LINE-2]]:1: error: instruction requires wavesize=32

v_dual_mul_f32 v255, m0, v255 :: v_dual_mov_b32 v7, m0
// GFX1250: v_dual_mul_f32 v255, m0, v255 :: v_dual_mov_b32 v7, m0 ; encoding: [0x7d,0x80,0x0c,0xcf,0x7d,0x00,0xff,0x00,0xff,0x00,0x00,0x07]
// W64-ERR: :[[@LINE-2]]:1: error: instruction requires wavesize=32

v_dual_mul_f32 v255, vcc_hi, v255 :: v_dual_mov_b32 v7, exec_lo
// GFX1250: v_dual_mul_f32 v255, vcc_hi, v255 :: v_dual_mov_b32 v7, exec_lo ; encoding: [0x6b,0x80,0x0c,0xcf,0x7e,0x00,0xff,0x00,0xff,0x00,0x00,0x07]
// W64-ERR: :[[@LINE-2]]:1: error: instruction requires wavesize=32

v_dual_mul_f32 v255, vcc_lo, v255 :: v_dual_mov_b32 v7, exec_hi
// GFX1250: v_dual_mul_f32 v255, vcc_lo, v255 :: v_dual_mov_b32 v7, exec_hi ; encoding: [0x6a,0x80,0x0c,0xcf,0x7f,0x00,0xff,0x00,0xff,0x00,0x00,0x07]
// W64-ERR: :[[@LINE-2]]:1: error: instruction requires wavesize=32

v_dual_mul_f32 v255, src_scc, v255 :: v_dual_mov_b32 v7, -1
// GFX1250: v_dual_mul_f32 v255, src_scc, v255 :: v_dual_mov_b32 v7, -1 ; encoding: [0xfd,0x80,0x0c,0xcf,0xc1,0x00,0xff,0x00,0xff,0x00,0x00,0x07]
// W64-ERR: :[[@LINE-2]]:1: error: instruction requires wavesize=32

v_dual_mul_f32 v255, 0.5, v3 :: v_dual_mov_b32 v7, 0.5
// GFX1250: v_dual_mul_f32 v255, 0.5, v3 :: v_dual_mov_b32 v7, 0.5 ; encoding: [0xf0,0x80,0x0c,0xcf,0xf0,0x00,0x03,0x00,0xff,0x00,0x00,0x07]
// W64-ERR: :[[@LINE-2]]:1: error: instruction requires wavesize=32

v_dual_mul_f32 v255, -1, v4 :: v_dual_mov_b32 v7, src_scc
// GFX1250: v_dual_mul_f32 v255, -1, v4 :: v_dual_mov_b32 v7, src_scc ; encoding: [0xc1,0x80,0x0c,0xcf,0xfd,0x00,0x04,0x00,0xff,0x00,0x00,0x07]
// W64-ERR: :[[@LINE-2]]:1: error: instruction requires wavesize=32

v_dual_mul_f32 v255, v4, v2 :: v_dual_mul_dx9_zero_f32 v7, v1, v3
// GFX1250: v_dual_mul_f32 v255, v4, v2 :: v_dual_mul_dx9_zero_f32 v7, v1, v3 ; encoding: [0x04,0x71,0x0c,0xcf,0x01,0x01,0x02,0x00,0xff,0x03,0x00,0x07]
// W64-ERR: :[[@LINE-2]]:1: error: instruction requires wavesize=32

v_dual_mul_f32 v255, v1, v2 :: v_dual_mul_dx9_zero_f32 v7, v255, v3
// GFX1250: v_dual_mul_f32 v255, v1, v2 :: v_dual_mul_dx9_zero_f32 v7, v255, v3 ; encoding: [0x01,0x71,0x0c,0xcf,0xff,0x01,0x02,0x00,0xff,0x03,0x00,0x07]
	;; [unrolled: 4-line block ×7, first 2 shown]
// W64-ERR: :[[@LINE-2]]:1: error: instruction requires wavesize=32

v_dual_mul_f32 v255, ttmp15, v2 :: v_dual_mul_dx9_zero_f32 v7, vcc_lo, v3
// GFX1250: v_dual_mul_f32 v255, ttmp15, v2 :: v_dual_mul_dx9_zero_f32 v7, vcc_lo, v3 ; encoding: [0x7b,0x70,0x0c,0xcf,0x6a,0x00,0x02,0x00,0xff,0x03,0x00,0x07]
// W64-ERR: :[[@LINE-2]]:1: error: instruction requires wavesize=32

v_dual_mul_f32 v255, exec_hi, v2 :: v_dual_mul_dx9_zero_f32 v7, vcc_hi, v3
// GFX1250: v_dual_mul_f32 v255, exec_hi, v2 :: v_dual_mul_dx9_zero_f32 v7, vcc_hi, v3 ; encoding: [0x7f,0x70,0x0c,0xcf,0x6b,0x00,0x02,0x00,0xff,0x03,0x00,0x07]
// W64-ERR: :[[@LINE-2]]:1: error: instruction requires wavesize=32

v_dual_mul_f32 v255, exec_lo, v2 :: v_dual_mul_dx9_zero_f32 v7, ttmp15, v3
// GFX1250: v_dual_mul_f32 v255, exec_lo, v2 :: v_dual_mul_dx9_zero_f32 v7, ttmp15, v3 ; encoding: [0x7e,0x70,0x0c,0xcf,0x7b,0x00,0x02,0x00,0xff,0x03,0x00,0x07]
// W64-ERR: :[[@LINE-2]]:1: error: instruction requires wavesize=32

v_dual_mul_f32 v255, m0, v2 :: v_dual_mul_dx9_zero_f32 v7, m0, v3
// GFX1250: v_dual_mul_f32 v255, m0, v2 :: v_dual_mul_dx9_zero_f32 v7, m0, v3 ; encoding: [0x7d,0x70,0x0c,0xcf,0x7d,0x00,0x02,0x00,0xff,0x03,0x00,0x07]
// W64-ERR: :[[@LINE-2]]:1: error: instruction requires wavesize=32

v_dual_mul_f32 v255, vcc_hi, v2 :: v_dual_mul_dx9_zero_f32 v7, exec_lo, v3
// GFX1250: v_dual_mul_f32 v255, vcc_hi, v2 :: v_dual_mul_dx9_zero_f32 v7, exec_lo, v3 ; encoding: [0x6b,0x70,0x0c,0xcf,0x7e,0x00,0x02,0x00,0xff,0x03,0x00,0x07]
// W64-ERR: :[[@LINE-2]]:1: error: instruction requires wavesize=32

v_dual_mul_f32 v255, vcc_lo, v2 :: v_dual_mul_dx9_zero_f32 v7, exec_hi, v3
// GFX1250: v_dual_mul_f32 v255, vcc_lo, v2 :: v_dual_mul_dx9_zero_f32 v7, exec_hi, v3 ; encoding: [0x6a,0x70,0x0c,0xcf,0x7f,0x00,0x02,0x00,0xff,0x03,0x00,0x07]
// W64-ERR: :[[@LINE-2]]:1: error: instruction requires wavesize=32

v_dual_mul_f32 v255, src_scc, v2 :: v_dual_mul_dx9_zero_f32 v7, -1, v3
// GFX1250: v_dual_mul_f32 v255, src_scc, v2 :: v_dual_mul_dx9_zero_f32 v7, -1, v3 ; encoding: [0xfd,0x70,0x0c,0xcf,0xc1,0x00,0x02,0x00,0xff,0x03,0x00,0x07]
// W64-ERR: :[[@LINE-2]]:1: error: instruction requires wavesize=32

v_dual_mul_f32 v255, 0.5, v3 :: v_dual_mul_dx9_zero_f32 v7, 0.5, v2
// GFX1250: v_dual_mul_f32 v255, 0.5, v3 :: v_dual_mul_dx9_zero_f32 v7, 0.5, v2 ; encoding: [0xf0,0x70,0x0c,0xcf,0xf0,0x00,0x03,0x00,0xff,0x02,0x00,0x07]
// W64-ERR: :[[@LINE-2]]:1: error: instruction requires wavesize=32

v_dual_mul_f32 v255, -1, v4 :: v_dual_mul_dx9_zero_f32 v7, src_scc, v5
// GFX1250: v_dual_mul_f32 v255, -1, v4 :: v_dual_mul_dx9_zero_f32 v7, src_scc, v5 ; encoding: [0xc1,0x70,0x0c,0xcf,0xfd,0x00,0x04,0x00,0xff,0x05,0x00,0x07]
// W64-ERR: :[[@LINE-2]]:1: error: instruction requires wavesize=32

v_dual_mul_f32 v255, v4, v2 :: v_dual_mul_f32 v7, v1, v3
// GFX1250: v_dual_mul_f32 v255, v4, v2 :: v_dual_mul_f32 v7, v1, v3 ; encoding: [0x04,0x31,0x0c,0xcf,0x01,0x01,0x02,0x00,0xff,0x03,0x00,0x07]
// W64-ERR: :[[@LINE-2]]:1: error: instruction requires wavesize=32

v_dual_mul_f32 v255, v1, v2 :: v_dual_mul_f32 v7, v255, v3
// GFX1250: v_dual_mul_f32 v255, v1, v2 :: v_dual_mul_f32 v7, v255, v3 ; encoding: [0x01,0x31,0x0c,0xcf,0xff,0x01,0x02,0x00,0xff,0x03,0x00,0x07]
	;; [unrolled: 4-line block ×7, first 2 shown]
// W64-ERR: :[[@LINE-2]]:1: error: instruction requires wavesize=32

v_dual_mul_f32 v255, ttmp15, v2 :: v_dual_mul_f32 v7, vcc_lo, v3
// GFX1250: v_dual_mul_f32 v255, ttmp15, v2 :: v_dual_mul_f32 v7, vcc_lo, v3 ; encoding: [0x7b,0x30,0x0c,0xcf,0x6a,0x00,0x02,0x00,0xff,0x03,0x00,0x07]
// W64-ERR: :[[@LINE-2]]:1: error: instruction requires wavesize=32

v_dual_mul_f32 v255, exec_hi, v2 :: v_dual_mul_f32 v7, vcc_hi, v3
// GFX1250: v_dual_mul_f32 v255, exec_hi, v2 :: v_dual_mul_f32 v7, vcc_hi, v3 ; encoding: [0x7f,0x30,0x0c,0xcf,0x6b,0x00,0x02,0x00,0xff,0x03,0x00,0x07]
// W64-ERR: :[[@LINE-2]]:1: error: instruction requires wavesize=32

v_dual_mul_f32 v255, exec_lo, v2 :: v_dual_mul_f32 v7, ttmp15, v3
// GFX1250: v_dual_mul_f32 v255, exec_lo, v2 :: v_dual_mul_f32 v7, ttmp15, v3 ; encoding: [0x7e,0x30,0x0c,0xcf,0x7b,0x00,0x02,0x00,0xff,0x03,0x00,0x07]
// W64-ERR: :[[@LINE-2]]:1: error: instruction requires wavesize=32

v_dual_mul_f32 v255, m0, v2 :: v_dual_mul_f32 v7, m0, v3
// GFX1250: v_dual_mul_f32 v255, m0, v2 :: v_dual_mul_f32 v7, m0, v3 ; encoding: [0x7d,0x30,0x0c,0xcf,0x7d,0x00,0x02,0x00,0xff,0x03,0x00,0x07]
// W64-ERR: :[[@LINE-2]]:1: error: instruction requires wavesize=32

v_dual_mul_f32 v255, vcc_hi, v2 :: v_dual_mul_f32 v7, exec_lo, v3
// GFX1250: v_dual_mul_f32 v255, vcc_hi, v2 :: v_dual_mul_f32 v7, exec_lo, v3 ; encoding: [0x6b,0x30,0x0c,0xcf,0x7e,0x00,0x02,0x00,0xff,0x03,0x00,0x07]
// W64-ERR: :[[@LINE-2]]:1: error: instruction requires wavesize=32

v_dual_mul_f32 v255, vcc_lo, v2 :: v_dual_mul_f32 v7, exec_hi, v3
// GFX1250: v_dual_mul_f32 v255, vcc_lo, v2 :: v_dual_mul_f32 v7, exec_hi, v3 ; encoding: [0x6a,0x30,0x0c,0xcf,0x7f,0x00,0x02,0x00,0xff,0x03,0x00,0x07]
// W64-ERR: :[[@LINE-2]]:1: error: instruction requires wavesize=32

v_dual_mul_f32 v255, src_scc, v2 :: v_dual_mul_f32 v7, -1, v3
// GFX1250: v_dual_mul_f32 v255, src_scc, v2 :: v_dual_mul_f32 v7, -1, v3 ; encoding: [0xfd,0x30,0x0c,0xcf,0xc1,0x00,0x02,0x00,0xff,0x03,0x00,0x07]
// W64-ERR: :[[@LINE-2]]:1: error: instruction requires wavesize=32

v_dual_mul_f32 v255, 0.5, v3 :: v_dual_mul_f32 v7, 0.5, v2
// GFX1250: v_dual_mul_f32 v255, 0.5, v3 :: v_dual_mul_f32 v7, 0.5, v2 ; encoding: [0xf0,0x30,0x0c,0xcf,0xf0,0x00,0x03,0x00,0xff,0x02,0x00,0x07]
// W64-ERR: :[[@LINE-2]]:1: error: instruction requires wavesize=32

v_dual_mul_f32 v255, -1, v4 :: v_dual_mul_f32 v7, src_scc, v5
// GFX1250: v_dual_mul_f32 v255, -1, v4 :: v_dual_mul_f32 v7, src_scc, v5 ; encoding: [0xc1,0x30,0x0c,0xcf,0xfd,0x00,0x04,0x00,0xff,0x05,0x00,0x07]
// W64-ERR: :[[@LINE-2]]:1: error: instruction requires wavesize=32

v_dual_mul_f32 v255, v4, v2 :: v_dual_sub_f32 v7, v1, v3
// GFX1250: v_dual_mul_f32 v255, v4, v2 :: v_dual_sub_f32 v7, v1, v3 ; encoding: [0x04,0x51,0x0c,0xcf,0x01,0x01,0x02,0x00,0xff,0x03,0x00,0x07]
// W64-ERR: :[[@LINE-2]]:1: error: instruction requires wavesize=32

v_dual_mul_f32 v255, v1, v2 :: v_dual_sub_f32 v7, v255, v3
// GFX1250: v_dual_mul_f32 v255, v1, v2 :: v_dual_sub_f32 v7, v255, v3 ; encoding: [0x01,0x51,0x0c,0xcf,0xff,0x01,0x02,0x00,0xff,0x03,0x00,0x07]
	;; [unrolled: 4-line block ×7, first 2 shown]
// W64-ERR: :[[@LINE-2]]:1: error: instruction requires wavesize=32

v_dual_mul_f32 v255, ttmp15, v2 :: v_dual_sub_f32 v7, vcc_lo, v3
// GFX1250: v_dual_mul_f32 v255, ttmp15, v2 :: v_dual_sub_f32 v7, vcc_lo, v3 ; encoding: [0x7b,0x50,0x0c,0xcf,0x6a,0x00,0x02,0x00,0xff,0x03,0x00,0x07]
// W64-ERR: :[[@LINE-2]]:1: error: instruction requires wavesize=32

v_dual_mul_f32 v255, exec_hi, v2 :: v_dual_sub_f32 v7, vcc_hi, v3
// GFX1250: v_dual_mul_f32 v255, exec_hi, v2 :: v_dual_sub_f32 v7, vcc_hi, v3 ; encoding: [0x7f,0x50,0x0c,0xcf,0x6b,0x00,0x02,0x00,0xff,0x03,0x00,0x07]
// W64-ERR: :[[@LINE-2]]:1: error: instruction requires wavesize=32

v_dual_mul_f32 v255, exec_lo, v2 :: v_dual_sub_f32 v7, ttmp15, v3
// GFX1250: v_dual_mul_f32 v255, exec_lo, v2 :: v_dual_sub_f32 v7, ttmp15, v3 ; encoding: [0x7e,0x50,0x0c,0xcf,0x7b,0x00,0x02,0x00,0xff,0x03,0x00,0x07]
// W64-ERR: :[[@LINE-2]]:1: error: instruction requires wavesize=32

v_dual_mul_f32 v255, m0, v2 :: v_dual_sub_f32 v7, m0, v3
// GFX1250: v_dual_mul_f32 v255, m0, v2 :: v_dual_sub_f32 v7, m0, v3 ; encoding: [0x7d,0x50,0x0c,0xcf,0x7d,0x00,0x02,0x00,0xff,0x03,0x00,0x07]
// W64-ERR: :[[@LINE-2]]:1: error: instruction requires wavesize=32

v_dual_mul_f32 v255, vcc_hi, v2 :: v_dual_sub_f32 v7, exec_lo, v3
// GFX1250: v_dual_mul_f32 v255, vcc_hi, v2 :: v_dual_sub_f32 v7, exec_lo, v3 ; encoding: [0x6b,0x50,0x0c,0xcf,0x7e,0x00,0x02,0x00,0xff,0x03,0x00,0x07]
// W64-ERR: :[[@LINE-2]]:1: error: instruction requires wavesize=32

v_dual_mul_f32 v255, vcc_lo, v2 :: v_dual_sub_f32 v7, exec_hi, v3
// GFX1250: v_dual_mul_f32 v255, vcc_lo, v2 :: v_dual_sub_f32 v7, exec_hi, v3 ; encoding: [0x6a,0x50,0x0c,0xcf,0x7f,0x00,0x02,0x00,0xff,0x03,0x00,0x07]
// W64-ERR: :[[@LINE-2]]:1: error: instruction requires wavesize=32

v_dual_mul_f32 v255, src_scc, v2 :: v_dual_sub_f32 v7, -1, v3
// GFX1250: v_dual_mul_f32 v255, src_scc, v2 :: v_dual_sub_f32 v7, -1, v3 ; encoding: [0xfd,0x50,0x0c,0xcf,0xc1,0x00,0x02,0x00,0xff,0x03,0x00,0x07]
// W64-ERR: :[[@LINE-2]]:1: error: instruction requires wavesize=32

v_dual_mul_f32 v255, 0.5, v3 :: v_dual_sub_f32 v7, 0.5, v2
// GFX1250: v_dual_mul_f32 v255, 0.5, v3 :: v_dual_sub_f32 v7, 0.5, v2 ; encoding: [0xf0,0x50,0x0c,0xcf,0xf0,0x00,0x03,0x00,0xff,0x02,0x00,0x07]
// W64-ERR: :[[@LINE-2]]:1: error: instruction requires wavesize=32

v_dual_mul_f32 v255, -1, v4 :: v_dual_sub_f32 v7, src_scc, v5
// GFX1250: v_dual_mul_f32 v255, -1, v4 :: v_dual_sub_f32 v7, src_scc, v5 ; encoding: [0xc1,0x50,0x0c,0xcf,0xfd,0x00,0x04,0x00,0xff,0x05,0x00,0x07]
// W64-ERR: :[[@LINE-2]]:1: error: instruction requires wavesize=32

v_dual_mul_f32 v255, v4, v2 :: v_dual_subrev_f32 v7, v1, v3
// GFX1250: v_dual_mul_f32 v255, v4, v2 :: v_dual_subrev_f32 v7, v1, v3 ; encoding: [0x04,0x61,0x0c,0xcf,0x01,0x01,0x02,0x00,0xff,0x03,0x00,0x07]
// W64-ERR: :[[@LINE-2]]:1: error: instruction requires wavesize=32

v_dual_mul_f32 v255, v1, v2 :: v_dual_subrev_f32 v7, v255, v3
// GFX1250: v_dual_mul_f32 v255, v1, v2 :: v_dual_subrev_f32 v7, v255, v3 ; encoding: [0x01,0x61,0x0c,0xcf,0xff,0x01,0x02,0x00,0xff,0x03,0x00,0x07]
	;; [unrolled: 4-line block ×7, first 2 shown]
// W64-ERR: :[[@LINE-2]]:1: error: instruction requires wavesize=32

v_dual_mul_f32 v255, ttmp15, v2 :: v_dual_subrev_f32 v7, vcc_lo, v3
// GFX1250: v_dual_mul_f32 v255, ttmp15, v2 :: v_dual_subrev_f32 v7, vcc_lo, v3 ; encoding: [0x7b,0x60,0x0c,0xcf,0x6a,0x00,0x02,0x00,0xff,0x03,0x00,0x07]
// W64-ERR: :[[@LINE-2]]:1: error: instruction requires wavesize=32

v_dual_mul_f32 v255, exec_hi, v2 :: v_dual_subrev_f32 v7, vcc_hi, v3
// GFX1250: v_dual_mul_f32 v255, exec_hi, v2 :: v_dual_subrev_f32 v7, vcc_hi, v3 ; encoding: [0x7f,0x60,0x0c,0xcf,0x6b,0x00,0x02,0x00,0xff,0x03,0x00,0x07]
// W64-ERR: :[[@LINE-2]]:1: error: instruction requires wavesize=32

v_dual_mul_f32 v255, exec_lo, v2 :: v_dual_subrev_f32 v7, ttmp15, v3
// GFX1250: v_dual_mul_f32 v255, exec_lo, v2 :: v_dual_subrev_f32 v7, ttmp15, v3 ; encoding: [0x7e,0x60,0x0c,0xcf,0x7b,0x00,0x02,0x00,0xff,0x03,0x00,0x07]
// W64-ERR: :[[@LINE-2]]:1: error: instruction requires wavesize=32

v_dual_mul_f32 v255, m0, v2 :: v_dual_subrev_f32 v7, m0, v3
// GFX1250: v_dual_mul_f32 v255, m0, v2 :: v_dual_subrev_f32 v7, m0, v3 ; encoding: [0x7d,0x60,0x0c,0xcf,0x7d,0x00,0x02,0x00,0xff,0x03,0x00,0x07]
// W64-ERR: :[[@LINE-2]]:1: error: instruction requires wavesize=32

v_dual_mul_f32 v255, vcc_hi, v2 :: v_dual_subrev_f32 v7, exec_lo, v3
// GFX1250: v_dual_mul_f32 v255, vcc_hi, v2 :: v_dual_subrev_f32 v7, exec_lo, v3 ; encoding: [0x6b,0x60,0x0c,0xcf,0x7e,0x00,0x02,0x00,0xff,0x03,0x00,0x07]
// W64-ERR: :[[@LINE-2]]:1: error: instruction requires wavesize=32

v_dual_mul_f32 v255, vcc_lo, v2 :: v_dual_subrev_f32 v7, exec_hi, v3
// GFX1250: v_dual_mul_f32 v255, vcc_lo, v2 :: v_dual_subrev_f32 v7, exec_hi, v3 ; encoding: [0x6a,0x60,0x0c,0xcf,0x7f,0x00,0x02,0x00,0xff,0x03,0x00,0x07]
// W64-ERR: :[[@LINE-2]]:1: error: instruction requires wavesize=32

v_dual_mul_f32 v255, src_scc, v2 :: v_dual_subrev_f32 v7, -1, v3
// GFX1250: v_dual_mul_f32 v255, src_scc, v2 :: v_dual_subrev_f32 v7, -1, v3 ; encoding: [0xfd,0x60,0x0c,0xcf,0xc1,0x00,0x02,0x00,0xff,0x03,0x00,0x07]
// W64-ERR: :[[@LINE-2]]:1: error: instruction requires wavesize=32

v_dual_mul_f32 v255, 0.5, v3 :: v_dual_subrev_f32 v7, 0.5, v2
// GFX1250: v_dual_mul_f32 v255, 0.5, v3 :: v_dual_subrev_f32 v7, 0.5, v2 ; encoding: [0xf0,0x60,0x0c,0xcf,0xf0,0x00,0x03,0x00,0xff,0x02,0x00,0x07]
// W64-ERR: :[[@LINE-2]]:1: error: instruction requires wavesize=32

v_dual_mul_f32 v255, -1, v4 :: v_dual_subrev_f32 v7, src_scc, v5
// GFX1250: v_dual_mul_f32 v255, -1, v4 :: v_dual_subrev_f32 v7, src_scc, v5 ; encoding: [0xc1,0x60,0x0c,0xcf,0xfd,0x00,0x04,0x00,0xff,0x05,0x00,0x07]
// W64-ERR: :[[@LINE-2]]:1: error: instruction requires wavesize=32

v_dual_mul_f32 v255, v4, v2 :: v_dual_fma_f32 v7, v1, v3, v4
// GFX1250: v_dual_mul_f32 v255, v4, v2 :: v_dual_fma_f32 v7, v1, v3, v4 ; encoding: [0x04,0x31,0x0d,0xcf,0x01,0x01,0x02,0x00,0xff,0x03,0x04,0x07]
// W64-ERR: :[[@LINE-2]]:1: error: instruction requires wavesize=32

v_dual_mul_f32 v255, v4, v2 :: v_dual_bitop2_b32 v7, v1, v3 bitop3:0x71
// GFX1250: v_dual_mul_f32 v255, v4, v2 :: v_dual_bitop2_b32 v7, v1, v3 bitop3:0x71 ; encoding: [0x04,0x21,0x0d,0xcf,0x01,0x01,0x02,0x00,0xff,0x03,0x71,0x07]
// W64-ERR: :[[@LINE-2]]:1: error: instruction requires wavesize=32

v_dual_sub_f32 v255, v4, v2 :: v_dual_add_f32 v7, v1, v3
// GFX1250: v_dual_sub_f32 v255, v4, v2 :: v_dual_add_f32 v7, v1, v3 ; encoding: [0x04,0x41,0x14,0xcf,0x01,0x01,0x02,0x00,0xff,0x03,0x00,0x07]
// W64-ERR: :[[@LINE-2]]:1: error: instruction requires wavesize=32

v_dual_sub_f32 v255, v1, v2 :: v_dual_add_f32 v7, v255, v3
// GFX1250: v_dual_sub_f32 v255, v1, v2 :: v_dual_add_f32 v7, v255, v3 ; encoding: [0x01,0x41,0x14,0xcf,0xff,0x01,0x02,0x00,0xff,0x03,0x00,0x07]
	;; [unrolled: 4-line block ×7, first 2 shown]
// W64-ERR: :[[@LINE-2]]:1: error: instruction requires wavesize=32

v_dual_sub_f32 v255, ttmp15, v2 :: v_dual_add_f32 v7, vcc_lo, v3
// GFX1250: v_dual_sub_f32 v255, ttmp15, v2 :: v_dual_add_f32 v7, vcc_lo, v3 ; encoding: [0x7b,0x40,0x14,0xcf,0x6a,0x00,0x02,0x00,0xff,0x03,0x00,0x07]
// W64-ERR: :[[@LINE-2]]:1: error: instruction requires wavesize=32

v_dual_sub_f32 v255, exec_hi, v2 :: v_dual_add_f32 v7, vcc_hi, v3
// GFX1250: v_dual_sub_f32 v255, exec_hi, v2 :: v_dual_add_f32 v7, vcc_hi, v3 ; encoding: [0x7f,0x40,0x14,0xcf,0x6b,0x00,0x02,0x00,0xff,0x03,0x00,0x07]
// W64-ERR: :[[@LINE-2]]:1: error: instruction requires wavesize=32

v_dual_sub_f32 v255, exec_lo, v2 :: v_dual_add_f32 v7, ttmp15, v3
// GFX1250: v_dual_sub_f32 v255, exec_lo, v2 :: v_dual_add_f32 v7, ttmp15, v3 ; encoding: [0x7e,0x40,0x14,0xcf,0x7b,0x00,0x02,0x00,0xff,0x03,0x00,0x07]
// W64-ERR: :[[@LINE-2]]:1: error: instruction requires wavesize=32

v_dual_sub_f32 v255, m0, v2 :: v_dual_add_f32 v7, m0, v3
// GFX1250: v_dual_sub_f32 v255, m0, v2 :: v_dual_add_f32 v7, m0, v3 ; encoding: [0x7d,0x40,0x14,0xcf,0x7d,0x00,0x02,0x00,0xff,0x03,0x00,0x07]
// W64-ERR: :[[@LINE-2]]:1: error: instruction requires wavesize=32

v_dual_sub_f32 v255, vcc_hi, v2 :: v_dual_add_f32 v7, exec_lo, v3
// GFX1250: v_dual_sub_f32 v255, vcc_hi, v2 :: v_dual_add_f32 v7, exec_lo, v3 ; encoding: [0x6b,0x40,0x14,0xcf,0x7e,0x00,0x02,0x00,0xff,0x03,0x00,0x07]
// W64-ERR: :[[@LINE-2]]:1: error: instruction requires wavesize=32

v_dual_sub_f32 v255, vcc_lo, v2 :: v_dual_add_f32 v7, exec_hi, v3
// GFX1250: v_dual_sub_f32 v255, vcc_lo, v2 :: v_dual_add_f32 v7, exec_hi, v3 ; encoding: [0x6a,0x40,0x14,0xcf,0x7f,0x00,0x02,0x00,0xff,0x03,0x00,0x07]
// W64-ERR: :[[@LINE-2]]:1: error: instruction requires wavesize=32

v_dual_sub_f32 v255, src_scc, v2 :: v_dual_add_f32 v7, -1, v3
// GFX1250: v_dual_sub_f32 v255, src_scc, v2 :: v_dual_add_f32 v7, -1, v3 ; encoding: [0xfd,0x40,0x14,0xcf,0xc1,0x00,0x02,0x00,0xff,0x03,0x00,0x07]
// W64-ERR: :[[@LINE-2]]:1: error: instruction requires wavesize=32

v_dual_sub_f32 v255, 0.5, v3 :: v_dual_add_f32 v7, 0.5, v2
// GFX1250: v_dual_sub_f32 v255, 0.5, v3 :: v_dual_add_f32 v7, 0.5, v2 ; encoding: [0xf0,0x40,0x14,0xcf,0xf0,0x00,0x03,0x00,0xff,0x02,0x00,0x07]
// W64-ERR: :[[@LINE-2]]:1: error: instruction requires wavesize=32

v_dual_sub_f32 v255, -1, v4 :: v_dual_add_f32 v7, src_scc, v5
// GFX1250: v_dual_sub_f32 v255, -1, v4 :: v_dual_add_f32 v7, src_scc, v5 ; encoding: [0xc1,0x40,0x14,0xcf,0xfd,0x00,0x04,0x00,0xff,0x05,0x00,0x07]
// W64-ERR: :[[@LINE-2]]:1: error: instruction requires wavesize=32

v_dual_sub_f32 v255, v4, v2 :: v_dual_add_nc_u32 v7, v1, v3
// GFX1250: v_dual_sub_f32 v255, v4, v2 :: v_dual_add_nc_u32 v7, v1, v3 ; encoding: [0x04,0x01,0x15,0xcf,0x01,0x01,0x02,0x00,0xff,0x03,0x00,0x07]
// W64-ERR: :[[@LINE-2]]:1: error: instruction requires wavesize=32

v_dual_sub_f32 v255, v1, v2 :: v_dual_add_nc_u32 v7, v255, v3
// GFX1250: v_dual_sub_f32 v255, v1, v2 :: v_dual_add_nc_u32 v7, v255, v3 ; encoding: [0x01,0x01,0x15,0xcf,0xff,0x01,0x02,0x00,0xff,0x03,0x00,0x07]
	;; [unrolled: 4-line block ×7, first 2 shown]
// W64-ERR: :[[@LINE-2]]:1: error: instruction requires wavesize=32

v_dual_sub_f32 v255, ttmp15, v2 :: v_dual_add_nc_u32 v7, vcc_lo, v3
// GFX1250: v_dual_sub_f32 v255, ttmp15, v2 :: v_dual_add_nc_u32 v7, vcc_lo, v3 ; encoding: [0x7b,0x00,0x15,0xcf,0x6a,0x00,0x02,0x00,0xff,0x03,0x00,0x07]
// W64-ERR: :[[@LINE-2]]:1: error: instruction requires wavesize=32

v_dual_sub_f32 v255, exec_hi, v2 :: v_dual_add_nc_u32 v7, vcc_hi, v3
// GFX1250: v_dual_sub_f32 v255, exec_hi, v2 :: v_dual_add_nc_u32 v7, vcc_hi, v3 ; encoding: [0x7f,0x00,0x15,0xcf,0x6b,0x00,0x02,0x00,0xff,0x03,0x00,0x07]
// W64-ERR: :[[@LINE-2]]:1: error: instruction requires wavesize=32

v_dual_sub_f32 v255, exec_lo, v2 :: v_dual_add_nc_u32 v7, ttmp15, v3
// GFX1250: v_dual_sub_f32 v255, exec_lo, v2 :: v_dual_add_nc_u32 v7, ttmp15, v3 ; encoding: [0x7e,0x00,0x15,0xcf,0x7b,0x00,0x02,0x00,0xff,0x03,0x00,0x07]
// W64-ERR: :[[@LINE-2]]:1: error: instruction requires wavesize=32

v_dual_sub_f32 v255, m0, v2 :: v_dual_add_nc_u32 v7, m0, v3
// GFX1250: v_dual_sub_f32 v255, m0, v2 :: v_dual_add_nc_u32 v7, m0, v3 ; encoding: [0x7d,0x00,0x15,0xcf,0x7d,0x00,0x02,0x00,0xff,0x03,0x00,0x07]
// W64-ERR: :[[@LINE-2]]:1: error: instruction requires wavesize=32

v_dual_sub_f32 v255, vcc_hi, v2 :: v_dual_add_nc_u32 v7, exec_lo, v3
// GFX1250: v_dual_sub_f32 v255, vcc_hi, v2 :: v_dual_add_nc_u32 v7, exec_lo, v3 ; encoding: [0x6b,0x00,0x15,0xcf,0x7e,0x00,0x02,0x00,0xff,0x03,0x00,0x07]
// W64-ERR: :[[@LINE-2]]:1: error: instruction requires wavesize=32

v_dual_sub_f32 v255, vcc_lo, v2 :: v_dual_add_nc_u32 v7, exec_hi, v3
// GFX1250: v_dual_sub_f32 v255, vcc_lo, v2 :: v_dual_add_nc_u32 v7, exec_hi, v3 ; encoding: [0x6a,0x00,0x15,0xcf,0x7f,0x00,0x02,0x00,0xff,0x03,0x00,0x07]
// W64-ERR: :[[@LINE-2]]:1: error: instruction requires wavesize=32

v_dual_sub_f32 v255, src_scc, v2 :: v_dual_add_nc_u32 v7, -1, v3
// GFX1250: v_dual_sub_f32 v255, src_scc, v2 :: v_dual_add_nc_u32 v7, -1, v3 ; encoding: [0xfd,0x00,0x15,0xcf,0xc1,0x00,0x02,0x00,0xff,0x03,0x00,0x07]
// W64-ERR: :[[@LINE-2]]:1: error: instruction requires wavesize=32

v_dual_sub_f32 v255, 0.5, v3 :: v_dual_add_nc_u32 v7, 0.5, v2
// GFX1250: v_dual_sub_f32 v255, 0.5, v3 :: v_dual_add_nc_u32 v7, 0.5, v2 ; encoding: [0xf0,0x00,0x15,0xcf,0xf0,0x00,0x03,0x00,0xff,0x02,0x00,0x07]
// W64-ERR: :[[@LINE-2]]:1: error: instruction requires wavesize=32

v_dual_sub_f32 v255, -1, v4 :: v_dual_add_nc_u32 v7, src_scc, v5
// GFX1250: v_dual_sub_f32 v255, -1, v4 :: v_dual_add_nc_u32 v7, src_scc, v5 ; encoding: [0xc1,0x00,0x15,0xcf,0xfd,0x00,0x04,0x00,0xff,0x05,0x00,0x07]
// W64-ERR: :[[@LINE-2]]:1: error: instruction requires wavesize=32

v_dual_sub_f32 v255, v4, v2 :: v_dual_cndmask_b32 v7, v1, v3, vcc_lo
// GFX1250: v_dual_sub_f32 v255, v4, v2 :: v_dual_cndmask_b32 v7, v1, v3, vcc_lo ; encoding: [0x04,0x91,0x14,0xcf,0x01,0x01,0x02,0x00,0xff,0x03,0x6a,0x07]
// W64-ERR: :[[@LINE-2]]:1: error: instruction requires wavesize=32

v_dual_sub_f32 v255, v1, v2 :: v_dual_cndmask_b32 v7, v255, v3, vcc_lo
// GFX1250: v_dual_sub_f32 v255, v1, v2 :: v_dual_cndmask_b32 v7, v255, v3, vcc_lo ; encoding: [0x01,0x91,0x14,0xcf,0xff,0x01,0x02,0x00,0xff,0x03,0x6a,0x07]
	;; [unrolled: 4-line block ×7, first 2 shown]
// W64-ERR: :[[@LINE-2]]:1: error: instruction requires wavesize=32

v_dual_sub_f32 v255, ttmp15, v2 :: v_dual_cndmask_b32 v7, ttmp15, v3, vcc_lo
// GFX1250: v_dual_sub_f32 v255, ttmp15, v2 :: v_dual_cndmask_b32 v7, ttmp15, v3, vcc_lo ; encoding: [0x7b,0x90,0x14,0xcf,0x7b,0x00,0x02,0x00,0xff,0x03,0x6a,0x07]
// W64-ERR: :[[@LINE-2]]:1: error: instruction requires wavesize=32

v_dual_sub_f32 v255, exec_hi, v2 :: v_dual_cndmask_b32 v7, exec_hi, v3, vcc_lo
// GFX1250: v_dual_sub_f32 v255, exec_hi, v2 :: v_dual_cndmask_b32 v7, exec_hi, v3, vcc_lo ; encoding: [0x7f,0x90,0x14,0xcf,0x7f,0x00,0x02,0x00,0xff,0x03,0x6a,0x07]
// W64-ERR: :[[@LINE-2]]:1: error: instruction requires wavesize=32

v_dual_sub_f32 v255, exec_lo, v2 :: v_dual_cndmask_b32 v7, exec_lo, v3, vcc_lo
// GFX1250: v_dual_sub_f32 v255, exec_lo, v2 :: v_dual_cndmask_b32 v7, exec_lo, v3, vcc_lo ; encoding: [0x7e,0x90,0x14,0xcf,0x7e,0x00,0x02,0x00,0xff,0x03,0x6a,0x07]
// W64-ERR: :[[@LINE-2]]:1: error: instruction requires wavesize=32

v_dual_sub_f32 v255, m0, v2 :: v_dual_cndmask_b32 v7, m0, v3, vcc_lo
// GFX1250: v_dual_sub_f32 v255, m0, v2 :: v_dual_cndmask_b32 v7, m0, v3, vcc_lo ; encoding: [0x7d,0x90,0x14,0xcf,0x7d,0x00,0x02,0x00,0xff,0x03,0x6a,0x07]
// W64-ERR: :[[@LINE-2]]:1: error: instruction requires wavesize=32

v_dual_sub_f32 v255, vcc_hi, v2 :: v_dual_cndmask_b32 v7, vcc_hi, v3, vcc_lo
// GFX1250: v_dual_sub_f32 v255, vcc_hi, v2 :: v_dual_cndmask_b32 v7, vcc_hi, v3, vcc_lo ; encoding: [0x6b,0x90,0x14,0xcf,0x6b,0x00,0x02,0x00,0xff,0x03,0x6a,0x07]
// W64-ERR: :[[@LINE-2]]:1: error: instruction requires wavesize=32

v_dual_sub_f32 v255, vcc_lo, v2 :: v_dual_cndmask_b32 v7, vcc_lo, v3, vcc_lo
// GFX1250: v_dual_sub_f32 v255, vcc_lo, v2 :: v_dual_cndmask_b32 v7, vcc_lo, v3, vcc_lo ; encoding: [0x6a,0x90,0x14,0xcf,0x6a,0x00,0x02,0x00,0xff,0x03,0x6a,0x07]
// W64-ERR: :[[@LINE-2]]:1: error: instruction requires wavesize=32

v_dual_sub_f32 v255, src_scc, v2 :: v_dual_cndmask_b32 v7, -1, v3, vcc_lo
// GFX1250: v_dual_sub_f32 v255, src_scc, v2 :: v_dual_cndmask_b32 v7, -1, v3, vcc_lo ; encoding: [0xfd,0x90,0x14,0xcf,0xc1,0x00,0x02,0x00,0xff,0x03,0x6a,0x07]
// W64-ERR: :[[@LINE-2]]:1: error: instruction requires wavesize=32

v_dual_sub_f32 v255, 0.5, v3 :: v_dual_cndmask_b32 v7, 0.5, v2, vcc_lo
// GFX1250: v_dual_sub_f32 v255, 0.5, v3 :: v_dual_cndmask_b32 v7, 0.5, v2, vcc_lo ; encoding: [0xf0,0x90,0x14,0xcf,0xf0,0x00,0x03,0x00,0xff,0x02,0x6a,0x07]
// W64-ERR: :[[@LINE-2]]:1: error: instruction requires wavesize=32

v_dual_sub_f32 v255, -1, v4 :: v_dual_cndmask_b32 v7, src_scc, v5, vcc_lo
// GFX1250: v_dual_sub_f32 v255, -1, v4 :: v_dual_cndmask_b32 v7, src_scc, v5, vcc_lo ; encoding: [0xc1,0x90,0x14,0xcf,0xfd,0x00,0x04,0x00,0xff,0x05,0x6a,0x07]
// W64-ERR: :[[@LINE-2]]:1: error: instruction requires wavesize=32

v_dual_sub_f32 v255, v4, v2 :: v_dual_fmac_f32 v7, v1, v3
// GFX1250: v_dual_sub_f32 v255, v4, v2 :: v_dual_fmac_f32 v7, v1, v3 ; encoding: [0x04,0x01,0x14,0xcf,0x01,0x01,0x02,0x00,0xff,0x03,0x00,0x07]
// W64-ERR: :[[@LINE-2]]:1: error: instruction requires wavesize=32

v_dual_sub_f32 v255, v1, v2 :: v_dual_fmac_f32 v7, v255, v3
// GFX1250: v_dual_sub_f32 v255, v1, v2 :: v_dual_fmac_f32 v7, v255, v3 ; encoding: [0x01,0x01,0x14,0xcf,0xff,0x01,0x02,0x00,0xff,0x03,0x00,0x07]
	;; [unrolled: 4-line block ×7, first 2 shown]
// W64-ERR: :[[@LINE-2]]:1: error: instruction requires wavesize=32

v_dual_sub_f32 v255, ttmp15, v2 :: v_dual_fmac_f32 v7, vcc_lo, v3
// GFX1250: v_dual_sub_f32 v255, ttmp15, v2 :: v_dual_fmac_f32 v7, vcc_lo, v3 ; encoding: [0x7b,0x00,0x14,0xcf,0x6a,0x00,0x02,0x00,0xff,0x03,0x00,0x07]
// W64-ERR: :[[@LINE-2]]:1: error: instruction requires wavesize=32

v_dual_sub_f32 v255, exec_hi, v2 :: v_dual_fmac_f32 v7, vcc_hi, v3
// GFX1250: v_dual_sub_f32 v255, exec_hi, v2 :: v_dual_fmac_f32 v7, vcc_hi, v3 ; encoding: [0x7f,0x00,0x14,0xcf,0x6b,0x00,0x02,0x00,0xff,0x03,0x00,0x07]
// W64-ERR: :[[@LINE-2]]:1: error: instruction requires wavesize=32

v_dual_sub_f32 v255, exec_lo, v2 :: v_dual_fmac_f32 v7, ttmp15, v3
// GFX1250: v_dual_sub_f32 v255, exec_lo, v2 :: v_dual_fmac_f32 v7, ttmp15, v3 ; encoding: [0x7e,0x00,0x14,0xcf,0x7b,0x00,0x02,0x00,0xff,0x03,0x00,0x07]
// W64-ERR: :[[@LINE-2]]:1: error: instruction requires wavesize=32

v_dual_sub_f32 v255, m0, v2 :: v_dual_fmac_f32 v7, m0, v3
// GFX1250: v_dual_sub_f32 v255, m0, v2 :: v_dual_fmac_f32 v7, m0, v3 ; encoding: [0x7d,0x00,0x14,0xcf,0x7d,0x00,0x02,0x00,0xff,0x03,0x00,0x07]
// W64-ERR: :[[@LINE-2]]:1: error: instruction requires wavesize=32

v_dual_sub_f32 v255, vcc_hi, v2 :: v_dual_fmac_f32 v7, exec_lo, v3
// GFX1250: v_dual_sub_f32 v255, vcc_hi, v2 :: v_dual_fmac_f32 v7, exec_lo, v3 ; encoding: [0x6b,0x00,0x14,0xcf,0x7e,0x00,0x02,0x00,0xff,0x03,0x00,0x07]
// W64-ERR: :[[@LINE-2]]:1: error: instruction requires wavesize=32

v_dual_sub_f32 v255, vcc_lo, v2 :: v_dual_fmac_f32 v7, exec_hi, v3
// GFX1250: v_dual_sub_f32 v255, vcc_lo, v2 :: v_dual_fmac_f32 v7, exec_hi, v3 ; encoding: [0x6a,0x00,0x14,0xcf,0x7f,0x00,0x02,0x00,0xff,0x03,0x00,0x07]
// W64-ERR: :[[@LINE-2]]:1: error: instruction requires wavesize=32

v_dual_sub_f32 v255, src_scc, v2 :: v_dual_fmac_f32 v7, -1, v3
// GFX1250: v_dual_sub_f32 v255, src_scc, v2 :: v_dual_fmac_f32 v7, -1, v3 ; encoding: [0xfd,0x00,0x14,0xcf,0xc1,0x00,0x02,0x00,0xff,0x03,0x00,0x07]
// W64-ERR: :[[@LINE-2]]:1: error: instruction requires wavesize=32

v_dual_sub_f32 v255, 0.5, v3 :: v_dual_fmac_f32 v7, 0.5, v2
// GFX1250: v_dual_sub_f32 v255, 0.5, v3 :: v_dual_fmac_f32 v7, 0.5, v2 ; encoding: [0xf0,0x00,0x14,0xcf,0xf0,0x00,0x03,0x00,0xff,0x02,0x00,0x07]
// W64-ERR: :[[@LINE-2]]:1: error: instruction requires wavesize=32

v_dual_sub_f32 v255, -1, v4 :: v_dual_fmac_f32 v7, src_scc, v5
// GFX1250: v_dual_sub_f32 v255, -1, v4 :: v_dual_fmac_f32 v7, src_scc, v5 ; encoding: [0xc1,0x00,0x14,0xcf,0xfd,0x00,0x04,0x00,0xff,0x05,0x00,0x07]
// W64-ERR: :[[@LINE-2]]:1: error: instruction requires wavesize=32

v_dual_sub_f32 v255, v4, v2 :: v_dual_lshlrev_b32 v7, v1, v3
// GFX1250: v_dual_sub_f32 v255, v4, v2 :: v_dual_lshlrev_b32 v7, v1, v3 ; encoding: [0x04,0x11,0x15,0xcf,0x01,0x01,0x02,0x00,0xff,0x03,0x00,0x07]
// W64-ERR: :[[@LINE-2]]:1: error: instruction requires wavesize=32

v_dual_sub_f32 v255, v1, v2 :: v_dual_lshlrev_b32 v7, v255, v3
// GFX1250: v_dual_sub_f32 v255, v1, v2 :: v_dual_lshlrev_b32 v7, v255, v3 ; encoding: [0x01,0x11,0x15,0xcf,0xff,0x01,0x02,0x00,0xff,0x03,0x00,0x07]
	;; [unrolled: 4-line block ×7, first 2 shown]
// W64-ERR: :[[@LINE-2]]:1: error: instruction requires wavesize=32

v_dual_sub_f32 v255, ttmp15, v2 :: v_dual_lshlrev_b32 v7, vcc_lo, v3
// GFX1250: v_dual_sub_f32 v255, ttmp15, v2 :: v_dual_lshlrev_b32 v7, vcc_lo, v3 ; encoding: [0x7b,0x10,0x15,0xcf,0x6a,0x00,0x02,0x00,0xff,0x03,0x00,0x07]
// W64-ERR: :[[@LINE-2]]:1: error: instruction requires wavesize=32

v_dual_sub_f32 v255, exec_hi, v2 :: v_dual_lshlrev_b32 v7, vcc_hi, v3
// GFX1250: v_dual_sub_f32 v255, exec_hi, v2 :: v_dual_lshlrev_b32 v7, vcc_hi, v3 ; encoding: [0x7f,0x10,0x15,0xcf,0x6b,0x00,0x02,0x00,0xff,0x03,0x00,0x07]
// W64-ERR: :[[@LINE-2]]:1: error: instruction requires wavesize=32

v_dual_sub_f32 v255, exec_lo, v2 :: v_dual_lshlrev_b32 v7, ttmp15, v3
// GFX1250: v_dual_sub_f32 v255, exec_lo, v2 :: v_dual_lshlrev_b32 v7, ttmp15, v3 ; encoding: [0x7e,0x10,0x15,0xcf,0x7b,0x00,0x02,0x00,0xff,0x03,0x00,0x07]
// W64-ERR: :[[@LINE-2]]:1: error: instruction requires wavesize=32

v_dual_sub_f32 v255, m0, v2 :: v_dual_lshlrev_b32 v7, m0, v3
// GFX1250: v_dual_sub_f32 v255, m0, v2 :: v_dual_lshlrev_b32 v7, m0, v3 ; encoding: [0x7d,0x10,0x15,0xcf,0x7d,0x00,0x02,0x00,0xff,0x03,0x00,0x07]
// W64-ERR: :[[@LINE-2]]:1: error: instruction requires wavesize=32

v_dual_sub_f32 v255, vcc_hi, v2 :: v_dual_lshlrev_b32 v7, exec_lo, v3
// GFX1250: v_dual_sub_f32 v255, vcc_hi, v2 :: v_dual_lshlrev_b32 v7, exec_lo, v3 ; encoding: [0x6b,0x10,0x15,0xcf,0x7e,0x00,0x02,0x00,0xff,0x03,0x00,0x07]
// W64-ERR: :[[@LINE-2]]:1: error: instruction requires wavesize=32

v_dual_sub_f32 v255, vcc_lo, v2 :: v_dual_lshlrev_b32 v7, exec_hi, v3
// GFX1250: v_dual_sub_f32 v255, vcc_lo, v2 :: v_dual_lshlrev_b32 v7, exec_hi, v3 ; encoding: [0x6a,0x10,0x15,0xcf,0x7f,0x00,0x02,0x00,0xff,0x03,0x00,0x07]
// W64-ERR: :[[@LINE-2]]:1: error: instruction requires wavesize=32

v_dual_sub_f32 v255, src_scc, v2 :: v_dual_lshlrev_b32 v7, -1, v3
// GFX1250: v_dual_sub_f32 v255, src_scc, v2 :: v_dual_lshlrev_b32 v7, -1, v3 ; encoding: [0xfd,0x10,0x15,0xcf,0xc1,0x00,0x02,0x00,0xff,0x03,0x00,0x07]
// W64-ERR: :[[@LINE-2]]:1: error: instruction requires wavesize=32

v_dual_sub_f32 v255, 0.5, v3 :: v_dual_lshlrev_b32 v7, 0.5, v2
// GFX1250: v_dual_sub_f32 v255, 0.5, v3 :: v_dual_lshlrev_b32 v7, 0.5, v2 ; encoding: [0xf0,0x10,0x15,0xcf,0xf0,0x00,0x03,0x00,0xff,0x02,0x00,0x07]
// W64-ERR: :[[@LINE-2]]:1: error: instruction requires wavesize=32

v_dual_sub_f32 v255, -1, v4 :: v_dual_lshlrev_b32 v7, src_scc, v5
// GFX1250: v_dual_sub_f32 v255, -1, v4 :: v_dual_lshlrev_b32 v7, src_scc, v5 ; encoding: [0xc1,0x10,0x15,0xcf,0xfd,0x00,0x04,0x00,0xff,0x05,0x00,0x07]
// W64-ERR: :[[@LINE-2]]:1: error: instruction requires wavesize=32

v_dual_sub_f32 v255, v4, v2 :: v_dual_max_num_f32 v7, v1, v3
// GFX1250: v_dual_sub_f32 v255, v4, v2 :: v_dual_max_num_f32 v7, v1, v3 ; encoding: [0x04,0xa1,0x14,0xcf,0x01,0x01,0x02,0x00,0xff,0x03,0x00,0x07]
// W64-ERR: :[[@LINE-2]]:1: error: instruction requires wavesize=32

v_dual_sub_f32 v255, v1, v2 :: v_dual_max_num_f32 v7, v255, v3
// GFX1250: v_dual_sub_f32 v255, v1, v2 :: v_dual_max_num_f32 v7, v255, v3 ; encoding: [0x01,0xa1,0x14,0xcf,0xff,0x01,0x02,0x00,0xff,0x03,0x00,0x07]
	;; [unrolled: 4-line block ×7, first 2 shown]
// W64-ERR: :[[@LINE-2]]:1: error: instruction requires wavesize=32

v_dual_sub_f32 v255, ttmp15, v2 :: v_dual_max_num_f32 v7, vcc_lo, v3
// GFX1250: v_dual_sub_f32 v255, ttmp15, v2 :: v_dual_max_num_f32 v7, vcc_lo, v3 ; encoding: [0x7b,0xa0,0x14,0xcf,0x6a,0x00,0x02,0x00,0xff,0x03,0x00,0x07]
// W64-ERR: :[[@LINE-2]]:1: error: instruction requires wavesize=32

v_dual_sub_f32 v255, exec_hi, v2 :: v_dual_max_num_f32 v7, vcc_hi, v3
// GFX1250: v_dual_sub_f32 v255, exec_hi, v2 :: v_dual_max_num_f32 v7, vcc_hi, v3 ; encoding: [0x7f,0xa0,0x14,0xcf,0x6b,0x00,0x02,0x00,0xff,0x03,0x00,0x07]
// W64-ERR: :[[@LINE-2]]:1: error: instruction requires wavesize=32

v_dual_sub_f32 v255, exec_lo, v2 :: v_dual_max_num_f32 v7, ttmp15, v3
// GFX1250: v_dual_sub_f32 v255, exec_lo, v2 :: v_dual_max_num_f32 v7, ttmp15, v3 ; encoding: [0x7e,0xa0,0x14,0xcf,0x7b,0x00,0x02,0x00,0xff,0x03,0x00,0x07]
// W64-ERR: :[[@LINE-2]]:1: error: instruction requires wavesize=32

v_dual_sub_f32 v255, m0, v2 :: v_dual_max_num_f32 v7, m0, v3
// GFX1250: v_dual_sub_f32 v255, m0, v2 :: v_dual_max_num_f32 v7, m0, v3 ; encoding: [0x7d,0xa0,0x14,0xcf,0x7d,0x00,0x02,0x00,0xff,0x03,0x00,0x07]
// W64-ERR: :[[@LINE-2]]:1: error: instruction requires wavesize=32

v_dual_sub_f32 v255, vcc_hi, v2 :: v_dual_max_num_f32 v7, exec_lo, v3
// GFX1250: v_dual_sub_f32 v255, vcc_hi, v2 :: v_dual_max_num_f32 v7, exec_lo, v3 ; encoding: [0x6b,0xa0,0x14,0xcf,0x7e,0x00,0x02,0x00,0xff,0x03,0x00,0x07]
// W64-ERR: :[[@LINE-2]]:1: error: instruction requires wavesize=32

v_dual_sub_f32 v255, vcc_lo, v2 :: v_dual_max_num_f32 v7, exec_hi, v3
// GFX1250: v_dual_sub_f32 v255, vcc_lo, v2 :: v_dual_max_num_f32 v7, exec_hi, v3 ; encoding: [0x6a,0xa0,0x14,0xcf,0x7f,0x00,0x02,0x00,0xff,0x03,0x00,0x07]
// W64-ERR: :[[@LINE-2]]:1: error: instruction requires wavesize=32

v_dual_sub_f32 v255, src_scc, v2 :: v_dual_max_num_f32 v7, -1, v3
// GFX1250: v_dual_sub_f32 v255, src_scc, v2 :: v_dual_max_num_f32 v7, -1, v3 ; encoding: [0xfd,0xa0,0x14,0xcf,0xc1,0x00,0x02,0x00,0xff,0x03,0x00,0x07]
// W64-ERR: :[[@LINE-2]]:1: error: instruction requires wavesize=32

v_dual_sub_f32 v255, 0.5, v3 :: v_dual_max_num_f32 v7, 0.5, v2
// GFX1250: v_dual_sub_f32 v255, 0.5, v3 :: v_dual_max_num_f32 v7, 0.5, v2 ; encoding: [0xf0,0xa0,0x14,0xcf,0xf0,0x00,0x03,0x00,0xff,0x02,0x00,0x07]
// W64-ERR: :[[@LINE-2]]:1: error: instruction requires wavesize=32

v_dual_sub_f32 v255, -1, v4 :: v_dual_max_num_f32 v7, src_scc, v5
// GFX1250: v_dual_sub_f32 v255, -1, v4 :: v_dual_max_num_f32 v7, src_scc, v5 ; encoding: [0xc1,0xa0,0x14,0xcf,0xfd,0x00,0x04,0x00,0xff,0x05,0x00,0x07]
// W64-ERR: :[[@LINE-2]]:1: error: instruction requires wavesize=32

v_dual_sub_f32 v255, v4, v2 :: v_dual_min_num_f32 v7, v1, v3
// GFX1250: v_dual_sub_f32 v255, v4, v2 :: v_dual_min_num_f32 v7, v1, v3 ; encoding: [0x04,0xb1,0x14,0xcf,0x01,0x01,0x02,0x00,0xff,0x03,0x00,0x07]
// W64-ERR: :[[@LINE-2]]:1: error: instruction requires wavesize=32

v_dual_sub_f32 v255, v1, v2 :: v_dual_min_num_f32 v7, v255, v3
// GFX1250: v_dual_sub_f32 v255, v1, v2 :: v_dual_min_num_f32 v7, v255, v3 ; encoding: [0x01,0xb1,0x14,0xcf,0xff,0x01,0x02,0x00,0xff,0x03,0x00,0x07]
	;; [unrolled: 4-line block ×7, first 2 shown]
// W64-ERR: :[[@LINE-2]]:1: error: instruction requires wavesize=32

v_dual_sub_f32 v255, ttmp15, v2 :: v_dual_min_num_f32 v7, vcc_lo, v3
// GFX1250: v_dual_sub_f32 v255, ttmp15, v2 :: v_dual_min_num_f32 v7, vcc_lo, v3 ; encoding: [0x7b,0xb0,0x14,0xcf,0x6a,0x00,0x02,0x00,0xff,0x03,0x00,0x07]
// W64-ERR: :[[@LINE-2]]:1: error: instruction requires wavesize=32

v_dual_sub_f32 v255, exec_hi, v2 :: v_dual_min_num_f32 v7, vcc_hi, v3
// GFX1250: v_dual_sub_f32 v255, exec_hi, v2 :: v_dual_min_num_f32 v7, vcc_hi, v3 ; encoding: [0x7f,0xb0,0x14,0xcf,0x6b,0x00,0x02,0x00,0xff,0x03,0x00,0x07]
// W64-ERR: :[[@LINE-2]]:1: error: instruction requires wavesize=32

v_dual_sub_f32 v255, exec_lo, v2 :: v_dual_min_num_f32 v7, ttmp15, v3
// GFX1250: v_dual_sub_f32 v255, exec_lo, v2 :: v_dual_min_num_f32 v7, ttmp15, v3 ; encoding: [0x7e,0xb0,0x14,0xcf,0x7b,0x00,0x02,0x00,0xff,0x03,0x00,0x07]
// W64-ERR: :[[@LINE-2]]:1: error: instruction requires wavesize=32

v_dual_sub_f32 v255, m0, v2 :: v_dual_min_num_f32 v7, m0, v3
// GFX1250: v_dual_sub_f32 v255, m0, v2 :: v_dual_min_num_f32 v7, m0, v3 ; encoding: [0x7d,0xb0,0x14,0xcf,0x7d,0x00,0x02,0x00,0xff,0x03,0x00,0x07]
// W64-ERR: :[[@LINE-2]]:1: error: instruction requires wavesize=32

v_dual_sub_f32 v255, vcc_hi, v2 :: v_dual_min_num_f32 v7, exec_lo, v3
// GFX1250: v_dual_sub_f32 v255, vcc_hi, v2 :: v_dual_min_num_f32 v7, exec_lo, v3 ; encoding: [0x6b,0xb0,0x14,0xcf,0x7e,0x00,0x02,0x00,0xff,0x03,0x00,0x07]
// W64-ERR: :[[@LINE-2]]:1: error: instruction requires wavesize=32

v_dual_sub_f32 v255, vcc_lo, v2 :: v_dual_min_num_f32 v7, exec_hi, v3
// GFX1250: v_dual_sub_f32 v255, vcc_lo, v2 :: v_dual_min_num_f32 v7, exec_hi, v3 ; encoding: [0x6a,0xb0,0x14,0xcf,0x7f,0x00,0x02,0x00,0xff,0x03,0x00,0x07]
// W64-ERR: :[[@LINE-2]]:1: error: instruction requires wavesize=32

v_dual_sub_f32 v255, src_scc, v2 :: v_dual_min_num_f32 v7, -1, v3
// GFX1250: v_dual_sub_f32 v255, src_scc, v2 :: v_dual_min_num_f32 v7, -1, v3 ; encoding: [0xfd,0xb0,0x14,0xcf,0xc1,0x00,0x02,0x00,0xff,0x03,0x00,0x07]
// W64-ERR: :[[@LINE-2]]:1: error: instruction requires wavesize=32

v_dual_sub_f32 v255, 0.5, v3 :: v_dual_min_num_f32 v7, 0.5, v2
// GFX1250: v_dual_sub_f32 v255, 0.5, v3 :: v_dual_min_num_f32 v7, 0.5, v2 ; encoding: [0xf0,0xb0,0x14,0xcf,0xf0,0x00,0x03,0x00,0xff,0x02,0x00,0x07]
// W64-ERR: :[[@LINE-2]]:1: error: instruction requires wavesize=32

v_dual_sub_f32 v255, -1, v4 :: v_dual_min_num_f32 v7, src_scc, v5
// GFX1250: v_dual_sub_f32 v255, -1, v4 :: v_dual_min_num_f32 v7, src_scc, v5 ; encoding: [0xc1,0xb0,0x14,0xcf,0xfd,0x00,0x04,0x00,0xff,0x05,0x00,0x07]
// W64-ERR: :[[@LINE-2]]:1: error: instruction requires wavesize=32

v_dual_sub_f32 v255, v4, v255 :: v_dual_mov_b32 v7, v1
// GFX1250: v_dual_sub_f32 v255, v4, v255 :: v_dual_mov_b32 v7, v1 ; encoding: [0x04,0x81,0x14,0xcf,0x01,0x01,0xff,0x00,0xff,0x00,0x00,0x07]
// W64-ERR: :[[@LINE-2]]:1: error: instruction requires wavesize=32

v_dual_sub_f32 v255, v1, v255 :: v_dual_mov_b32 v7, v255
// GFX1250: v_dual_sub_f32 v255, v1, v255 :: v_dual_mov_b32 v7, v255 ; encoding: [0x01,0x81,0x14,0xcf,0xff,0x01,0xff,0x00,0xff,0x00,0x00,0x07]
	;; [unrolled: 4-line block ×7, first 2 shown]
// W64-ERR: :[[@LINE-2]]:1: error: instruction requires wavesize=32

v_dual_sub_f32 v255, ttmp15, v255 :: v_dual_mov_b32 v7, vcc_lo
// GFX1250: v_dual_sub_f32 v255, ttmp15, v255 :: v_dual_mov_b32 v7, vcc_lo ; encoding: [0x7b,0x80,0x14,0xcf,0x6a,0x00,0xff,0x00,0xff,0x00,0x00,0x07]
// W64-ERR: :[[@LINE-2]]:1: error: instruction requires wavesize=32

v_dual_sub_f32 v255, exec_hi, v255 :: v_dual_mov_b32 v7, vcc_hi
// GFX1250: v_dual_sub_f32 v255, exec_hi, v255 :: v_dual_mov_b32 v7, vcc_hi ; encoding: [0x7f,0x80,0x14,0xcf,0x6b,0x00,0xff,0x00,0xff,0x00,0x00,0x07]
// W64-ERR: :[[@LINE-2]]:1: error: instruction requires wavesize=32

v_dual_sub_f32 v255, exec_lo, v255 :: v_dual_mov_b32 v7, ttmp15
// GFX1250: v_dual_sub_f32 v255, exec_lo, v255 :: v_dual_mov_b32 v7, ttmp15 ; encoding: [0x7e,0x80,0x14,0xcf,0x7b,0x00,0xff,0x00,0xff,0x00,0x00,0x07]
// W64-ERR: :[[@LINE-2]]:1: error: instruction requires wavesize=32

v_dual_sub_f32 v255, m0, v255 :: v_dual_mov_b32 v7, m0
// GFX1250: v_dual_sub_f32 v255, m0, v255 :: v_dual_mov_b32 v7, m0 ; encoding: [0x7d,0x80,0x14,0xcf,0x7d,0x00,0xff,0x00,0xff,0x00,0x00,0x07]
// W64-ERR: :[[@LINE-2]]:1: error: instruction requires wavesize=32

v_dual_sub_f32 v255, vcc_hi, v255 :: v_dual_mov_b32 v7, exec_lo
// GFX1250: v_dual_sub_f32 v255, vcc_hi, v255 :: v_dual_mov_b32 v7, exec_lo ; encoding: [0x6b,0x80,0x14,0xcf,0x7e,0x00,0xff,0x00,0xff,0x00,0x00,0x07]
// W64-ERR: :[[@LINE-2]]:1: error: instruction requires wavesize=32

v_dual_sub_f32 v255, vcc_lo, v255 :: v_dual_mov_b32 v7, exec_hi
// GFX1250: v_dual_sub_f32 v255, vcc_lo, v255 :: v_dual_mov_b32 v7, exec_hi ; encoding: [0x6a,0x80,0x14,0xcf,0x7f,0x00,0xff,0x00,0xff,0x00,0x00,0x07]
// W64-ERR: :[[@LINE-2]]:1: error: instruction requires wavesize=32

v_dual_sub_f32 v255, src_scc, v255 :: v_dual_mov_b32 v7, -1
// GFX1250: v_dual_sub_f32 v255, src_scc, v255 :: v_dual_mov_b32 v7, -1 ; encoding: [0xfd,0x80,0x14,0xcf,0xc1,0x00,0xff,0x00,0xff,0x00,0x00,0x07]
// W64-ERR: :[[@LINE-2]]:1: error: instruction requires wavesize=32

v_dual_sub_f32 v255, 0.5, v3 :: v_dual_mov_b32 v7, 0.5
// GFX1250: v_dual_sub_f32 v255, 0.5, v3 :: v_dual_mov_b32 v7, 0.5 ; encoding: [0xf0,0x80,0x14,0xcf,0xf0,0x00,0x03,0x00,0xff,0x00,0x00,0x07]
// W64-ERR: :[[@LINE-2]]:1: error: instruction requires wavesize=32

v_dual_sub_f32 v255, -1, v4 :: v_dual_mov_b32 v7, src_scc
// GFX1250: v_dual_sub_f32 v255, -1, v4 :: v_dual_mov_b32 v7, src_scc ; encoding: [0xc1,0x80,0x14,0xcf,0xfd,0x00,0x04,0x00,0xff,0x00,0x00,0x07]
// W64-ERR: :[[@LINE-2]]:1: error: instruction requires wavesize=32

v_dual_sub_f32 v255, v4, v2 :: v_dual_mul_dx9_zero_f32 v7, v1, v3
// GFX1250: v_dual_sub_f32 v255, v4, v2 :: v_dual_mul_dx9_zero_f32 v7, v1, v3 ; encoding: [0x04,0x71,0x14,0xcf,0x01,0x01,0x02,0x00,0xff,0x03,0x00,0x07]
// W64-ERR: :[[@LINE-2]]:1: error: instruction requires wavesize=32

v_dual_sub_f32 v255, v1, v2 :: v_dual_mul_dx9_zero_f32 v7, v255, v3
// GFX1250: v_dual_sub_f32 v255, v1, v2 :: v_dual_mul_dx9_zero_f32 v7, v255, v3 ; encoding: [0x01,0x71,0x14,0xcf,0xff,0x01,0x02,0x00,0xff,0x03,0x00,0x07]
	;; [unrolled: 4-line block ×7, first 2 shown]
// W64-ERR: :[[@LINE-2]]:1: error: instruction requires wavesize=32

v_dual_sub_f32 v255, ttmp15, v2 :: v_dual_mul_dx9_zero_f32 v7, vcc_lo, v3
// GFX1250: v_dual_sub_f32 v255, ttmp15, v2 :: v_dual_mul_dx9_zero_f32 v7, vcc_lo, v3 ; encoding: [0x7b,0x70,0x14,0xcf,0x6a,0x00,0x02,0x00,0xff,0x03,0x00,0x07]
// W64-ERR: :[[@LINE-2]]:1: error: instruction requires wavesize=32

v_dual_sub_f32 v255, exec_hi, v2 :: v_dual_mul_dx9_zero_f32 v7, vcc_hi, v3
// GFX1250: v_dual_sub_f32 v255, exec_hi, v2 :: v_dual_mul_dx9_zero_f32 v7, vcc_hi, v3 ; encoding: [0x7f,0x70,0x14,0xcf,0x6b,0x00,0x02,0x00,0xff,0x03,0x00,0x07]
// W64-ERR: :[[@LINE-2]]:1: error: instruction requires wavesize=32

v_dual_sub_f32 v255, exec_lo, v2 :: v_dual_mul_dx9_zero_f32 v7, ttmp15, v3
// GFX1250: v_dual_sub_f32 v255, exec_lo, v2 :: v_dual_mul_dx9_zero_f32 v7, ttmp15, v3 ; encoding: [0x7e,0x70,0x14,0xcf,0x7b,0x00,0x02,0x00,0xff,0x03,0x00,0x07]
// W64-ERR: :[[@LINE-2]]:1: error: instruction requires wavesize=32

v_dual_sub_f32 v255, m0, v2 :: v_dual_mul_dx9_zero_f32 v7, m0, v3
// GFX1250: v_dual_sub_f32 v255, m0, v2 :: v_dual_mul_dx9_zero_f32 v7, m0, v3 ; encoding: [0x7d,0x70,0x14,0xcf,0x7d,0x00,0x02,0x00,0xff,0x03,0x00,0x07]
// W64-ERR: :[[@LINE-2]]:1: error: instruction requires wavesize=32

v_dual_sub_f32 v255, vcc_hi, v2 :: v_dual_mul_dx9_zero_f32 v7, exec_lo, v3
// GFX1250: v_dual_sub_f32 v255, vcc_hi, v2 :: v_dual_mul_dx9_zero_f32 v7, exec_lo, v3 ; encoding: [0x6b,0x70,0x14,0xcf,0x7e,0x00,0x02,0x00,0xff,0x03,0x00,0x07]
// W64-ERR: :[[@LINE-2]]:1: error: instruction requires wavesize=32

v_dual_sub_f32 v255, vcc_lo, v2 :: v_dual_mul_dx9_zero_f32 v7, exec_hi, v3
// GFX1250: v_dual_sub_f32 v255, vcc_lo, v2 :: v_dual_mul_dx9_zero_f32 v7, exec_hi, v3 ; encoding: [0x6a,0x70,0x14,0xcf,0x7f,0x00,0x02,0x00,0xff,0x03,0x00,0x07]
// W64-ERR: :[[@LINE-2]]:1: error: instruction requires wavesize=32

v_dual_sub_f32 v255, src_scc, v2 :: v_dual_mul_dx9_zero_f32 v7, -1, v3
// GFX1250: v_dual_sub_f32 v255, src_scc, v2 :: v_dual_mul_dx9_zero_f32 v7, -1, v3 ; encoding: [0xfd,0x70,0x14,0xcf,0xc1,0x00,0x02,0x00,0xff,0x03,0x00,0x07]
// W64-ERR: :[[@LINE-2]]:1: error: instruction requires wavesize=32

v_dual_sub_f32 v255, 0.5, v3 :: v_dual_mul_dx9_zero_f32 v7, 0.5, v2
// GFX1250: v_dual_sub_f32 v255, 0.5, v3 :: v_dual_mul_dx9_zero_f32 v7, 0.5, v2 ; encoding: [0xf0,0x70,0x14,0xcf,0xf0,0x00,0x03,0x00,0xff,0x02,0x00,0x07]
// W64-ERR: :[[@LINE-2]]:1: error: instruction requires wavesize=32

v_dual_sub_f32 v255, -1, v4 :: v_dual_mul_dx9_zero_f32 v7, src_scc, v5
// GFX1250: v_dual_sub_f32 v255, -1, v4 :: v_dual_mul_dx9_zero_f32 v7, src_scc, v5 ; encoding: [0xc1,0x70,0x14,0xcf,0xfd,0x00,0x04,0x00,0xff,0x05,0x00,0x07]
// W64-ERR: :[[@LINE-2]]:1: error: instruction requires wavesize=32

v_dual_sub_f32 v255, v4, v2 :: v_dual_mul_f32 v7, v1, v3
// GFX1250: v_dual_sub_f32 v255, v4, v2 :: v_dual_mul_f32 v7, v1, v3 ; encoding: [0x04,0x31,0x14,0xcf,0x01,0x01,0x02,0x00,0xff,0x03,0x00,0x07]
// W64-ERR: :[[@LINE-2]]:1: error: instruction requires wavesize=32

v_dual_sub_f32 v255, v1, v2 :: v_dual_mul_f32 v7, v255, v3
// GFX1250: v_dual_sub_f32 v255, v1, v2 :: v_dual_mul_f32 v7, v255, v3 ; encoding: [0x01,0x31,0x14,0xcf,0xff,0x01,0x02,0x00,0xff,0x03,0x00,0x07]
	;; [unrolled: 4-line block ×7, first 2 shown]
// W64-ERR: :[[@LINE-2]]:1: error: instruction requires wavesize=32

v_dual_sub_f32 v255, ttmp15, v2 :: v_dual_mul_f32 v7, vcc_lo, v3
// GFX1250: v_dual_sub_f32 v255, ttmp15, v2 :: v_dual_mul_f32 v7, vcc_lo, v3 ; encoding: [0x7b,0x30,0x14,0xcf,0x6a,0x00,0x02,0x00,0xff,0x03,0x00,0x07]
// W64-ERR: :[[@LINE-2]]:1: error: instruction requires wavesize=32

v_dual_sub_f32 v255, exec_hi, v2 :: v_dual_mul_f32 v7, vcc_hi, v3
// GFX1250: v_dual_sub_f32 v255, exec_hi, v2 :: v_dual_mul_f32 v7, vcc_hi, v3 ; encoding: [0x7f,0x30,0x14,0xcf,0x6b,0x00,0x02,0x00,0xff,0x03,0x00,0x07]
// W64-ERR: :[[@LINE-2]]:1: error: instruction requires wavesize=32

v_dual_sub_f32 v255, exec_lo, v2 :: v_dual_mul_f32 v7, ttmp15, v3
// GFX1250: v_dual_sub_f32 v255, exec_lo, v2 :: v_dual_mul_f32 v7, ttmp15, v3 ; encoding: [0x7e,0x30,0x14,0xcf,0x7b,0x00,0x02,0x00,0xff,0x03,0x00,0x07]
// W64-ERR: :[[@LINE-2]]:1: error: instruction requires wavesize=32

v_dual_sub_f32 v255, m0, v2 :: v_dual_mul_f32 v7, m0, v3
// GFX1250: v_dual_sub_f32 v255, m0, v2 :: v_dual_mul_f32 v7, m0, v3 ; encoding: [0x7d,0x30,0x14,0xcf,0x7d,0x00,0x02,0x00,0xff,0x03,0x00,0x07]
// W64-ERR: :[[@LINE-2]]:1: error: instruction requires wavesize=32

v_dual_sub_f32 v255, vcc_hi, v2 :: v_dual_mul_f32 v7, exec_lo, v3
// GFX1250: v_dual_sub_f32 v255, vcc_hi, v2 :: v_dual_mul_f32 v7, exec_lo, v3 ; encoding: [0x6b,0x30,0x14,0xcf,0x7e,0x00,0x02,0x00,0xff,0x03,0x00,0x07]
// W64-ERR: :[[@LINE-2]]:1: error: instruction requires wavesize=32

v_dual_sub_f32 v255, vcc_lo, v2 :: v_dual_mul_f32 v7, exec_hi, v3
// GFX1250: v_dual_sub_f32 v255, vcc_lo, v2 :: v_dual_mul_f32 v7, exec_hi, v3 ; encoding: [0x6a,0x30,0x14,0xcf,0x7f,0x00,0x02,0x00,0xff,0x03,0x00,0x07]
// W64-ERR: :[[@LINE-2]]:1: error: instruction requires wavesize=32

v_dual_sub_f32 v255, src_scc, v2 :: v_dual_mul_f32 v7, -1, v3
// GFX1250: v_dual_sub_f32 v255, src_scc, v2 :: v_dual_mul_f32 v7, -1, v3 ; encoding: [0xfd,0x30,0x14,0xcf,0xc1,0x00,0x02,0x00,0xff,0x03,0x00,0x07]
// W64-ERR: :[[@LINE-2]]:1: error: instruction requires wavesize=32

v_dual_sub_f32 v255, 0.5, v3 :: v_dual_mul_f32 v7, 0.5, v2
// GFX1250: v_dual_sub_f32 v255, 0.5, v3 :: v_dual_mul_f32 v7, 0.5, v2 ; encoding: [0xf0,0x30,0x14,0xcf,0xf0,0x00,0x03,0x00,0xff,0x02,0x00,0x07]
// W64-ERR: :[[@LINE-2]]:1: error: instruction requires wavesize=32

v_dual_sub_f32 v255, -1, v4 :: v_dual_mul_f32 v7, src_scc, v5
// GFX1250: v_dual_sub_f32 v255, -1, v4 :: v_dual_mul_f32 v7, src_scc, v5 ; encoding: [0xc1,0x30,0x14,0xcf,0xfd,0x00,0x04,0x00,0xff,0x05,0x00,0x07]
// W64-ERR: :[[@LINE-2]]:1: error: instruction requires wavesize=32

v_dual_sub_f32 v255, v4, v2 :: v_dual_sub_f32 v7, v1, v3
// GFX1250: v_dual_sub_f32 v255, v4, v2 :: v_dual_sub_f32 v7, v1, v3 ; encoding: [0x04,0x51,0x14,0xcf,0x01,0x01,0x02,0x00,0xff,0x03,0x00,0x07]
// W64-ERR: :[[@LINE-2]]:1: error: instruction requires wavesize=32

v_dual_sub_f32 v255, v1, v2 :: v_dual_sub_f32 v7, v255, v3
// GFX1250: v_dual_sub_f32 v255, v1, v2 :: v_dual_sub_f32 v7, v255, v3 ; encoding: [0x01,0x51,0x14,0xcf,0xff,0x01,0x02,0x00,0xff,0x03,0x00,0x07]
	;; [unrolled: 4-line block ×7, first 2 shown]
// W64-ERR: :[[@LINE-2]]:1: error: instruction requires wavesize=32

v_dual_sub_f32 v255, ttmp15, v2 :: v_dual_sub_f32 v7, vcc_lo, v3
// GFX1250: v_dual_sub_f32 v255, ttmp15, v2 :: v_dual_sub_f32 v7, vcc_lo, v3 ; encoding: [0x7b,0x50,0x14,0xcf,0x6a,0x00,0x02,0x00,0xff,0x03,0x00,0x07]
// W64-ERR: :[[@LINE-2]]:1: error: instruction requires wavesize=32

v_dual_sub_f32 v255, exec_hi, v2 :: v_dual_sub_f32 v7, vcc_hi, v3
// GFX1250: v_dual_sub_f32 v255, exec_hi, v2 :: v_dual_sub_f32 v7, vcc_hi, v3 ; encoding: [0x7f,0x50,0x14,0xcf,0x6b,0x00,0x02,0x00,0xff,0x03,0x00,0x07]
// W64-ERR: :[[@LINE-2]]:1: error: instruction requires wavesize=32

v_dual_sub_f32 v255, exec_lo, v2 :: v_dual_sub_f32 v7, ttmp15, v3
// GFX1250: v_dual_sub_f32 v255, exec_lo, v2 :: v_dual_sub_f32 v7, ttmp15, v3 ; encoding: [0x7e,0x50,0x14,0xcf,0x7b,0x00,0x02,0x00,0xff,0x03,0x00,0x07]
// W64-ERR: :[[@LINE-2]]:1: error: instruction requires wavesize=32

v_dual_sub_f32 v255, m0, v2 :: v_dual_sub_f32 v7, m0, v3
// GFX1250: v_dual_sub_f32 v255, m0, v2 :: v_dual_sub_f32 v7, m0, v3 ; encoding: [0x7d,0x50,0x14,0xcf,0x7d,0x00,0x02,0x00,0xff,0x03,0x00,0x07]
// W64-ERR: :[[@LINE-2]]:1: error: instruction requires wavesize=32

v_dual_sub_f32 v255, vcc_hi, v2 :: v_dual_sub_f32 v7, exec_lo, v3
// GFX1250: v_dual_sub_f32 v255, vcc_hi, v2 :: v_dual_sub_f32 v7, exec_lo, v3 ; encoding: [0x6b,0x50,0x14,0xcf,0x7e,0x00,0x02,0x00,0xff,0x03,0x00,0x07]
// W64-ERR: :[[@LINE-2]]:1: error: instruction requires wavesize=32

v_dual_sub_f32 v255, vcc_lo, v2 :: v_dual_sub_f32 v7, exec_hi, v3
// GFX1250: v_dual_sub_f32 v255, vcc_lo, v2 :: v_dual_sub_f32 v7, exec_hi, v3 ; encoding: [0x6a,0x50,0x14,0xcf,0x7f,0x00,0x02,0x00,0xff,0x03,0x00,0x07]
// W64-ERR: :[[@LINE-2]]:1: error: instruction requires wavesize=32

v_dual_sub_f32 v255, src_scc, v2 :: v_dual_sub_f32 v7, -1, v3
// GFX1250: v_dual_sub_f32 v255, src_scc, v2 :: v_dual_sub_f32 v7, -1, v3 ; encoding: [0xfd,0x50,0x14,0xcf,0xc1,0x00,0x02,0x00,0xff,0x03,0x00,0x07]
// W64-ERR: :[[@LINE-2]]:1: error: instruction requires wavesize=32

v_dual_sub_f32 v255, 0.5, v3 :: v_dual_sub_f32 v7, 0.5, v2
// GFX1250: v_dual_sub_f32 v255, 0.5, v3 :: v_dual_sub_f32 v7, 0.5, v2 ; encoding: [0xf0,0x50,0x14,0xcf,0xf0,0x00,0x03,0x00,0xff,0x02,0x00,0x07]
// W64-ERR: :[[@LINE-2]]:1: error: instruction requires wavesize=32

v_dual_sub_f32 v255, -1, v4 :: v_dual_sub_f32 v7, src_scc, v5
// GFX1250: v_dual_sub_f32 v255, -1, v4 :: v_dual_sub_f32 v7, src_scc, v5 ; encoding: [0xc1,0x50,0x14,0xcf,0xfd,0x00,0x04,0x00,0xff,0x05,0x00,0x07]
// W64-ERR: :[[@LINE-2]]:1: error: instruction requires wavesize=32

v_dual_sub_f32 v255, v4, v2 :: v_dual_subrev_f32 v7, v1, v3
// GFX1250: v_dual_sub_f32 v255, v4, v2 :: v_dual_subrev_f32 v7, v1, v3 ; encoding: [0x04,0x61,0x14,0xcf,0x01,0x01,0x02,0x00,0xff,0x03,0x00,0x07]
// W64-ERR: :[[@LINE-2]]:1: error: instruction requires wavesize=32

v_dual_sub_f32 v255, v1, v2 :: v_dual_subrev_f32 v7, v255, v3
// GFX1250: v_dual_sub_f32 v255, v1, v2 :: v_dual_subrev_f32 v7, v255, v3 ; encoding: [0x01,0x61,0x14,0xcf,0xff,0x01,0x02,0x00,0xff,0x03,0x00,0x07]
	;; [unrolled: 4-line block ×7, first 2 shown]
// W64-ERR: :[[@LINE-2]]:1: error: instruction requires wavesize=32

v_dual_sub_f32 v255, ttmp15, v2 :: v_dual_subrev_f32 v7, vcc_lo, v3
// GFX1250: v_dual_sub_f32 v255, ttmp15, v2 :: v_dual_subrev_f32 v7, vcc_lo, v3 ; encoding: [0x7b,0x60,0x14,0xcf,0x6a,0x00,0x02,0x00,0xff,0x03,0x00,0x07]
// W64-ERR: :[[@LINE-2]]:1: error: instruction requires wavesize=32

v_dual_sub_f32 v255, exec_hi, v2 :: v_dual_subrev_f32 v7, vcc_hi, v3
// GFX1250: v_dual_sub_f32 v255, exec_hi, v2 :: v_dual_subrev_f32 v7, vcc_hi, v3 ; encoding: [0x7f,0x60,0x14,0xcf,0x6b,0x00,0x02,0x00,0xff,0x03,0x00,0x07]
// W64-ERR: :[[@LINE-2]]:1: error: instruction requires wavesize=32

v_dual_sub_f32 v255, exec_lo, v2 :: v_dual_subrev_f32 v7, ttmp15, v3
// GFX1250: v_dual_sub_f32 v255, exec_lo, v2 :: v_dual_subrev_f32 v7, ttmp15, v3 ; encoding: [0x7e,0x60,0x14,0xcf,0x7b,0x00,0x02,0x00,0xff,0x03,0x00,0x07]
// W64-ERR: :[[@LINE-2]]:1: error: instruction requires wavesize=32

v_dual_sub_f32 v255, m0, v2 :: v_dual_subrev_f32 v7, m0, v3
// GFX1250: v_dual_sub_f32 v255, m0, v2 :: v_dual_subrev_f32 v7, m0, v3 ; encoding: [0x7d,0x60,0x14,0xcf,0x7d,0x00,0x02,0x00,0xff,0x03,0x00,0x07]
// W64-ERR: :[[@LINE-2]]:1: error: instruction requires wavesize=32

v_dual_sub_f32 v255, vcc_hi, v2 :: v_dual_subrev_f32 v7, exec_lo, v3
// GFX1250: v_dual_sub_f32 v255, vcc_hi, v2 :: v_dual_subrev_f32 v7, exec_lo, v3 ; encoding: [0x6b,0x60,0x14,0xcf,0x7e,0x00,0x02,0x00,0xff,0x03,0x00,0x07]
// W64-ERR: :[[@LINE-2]]:1: error: instruction requires wavesize=32

v_dual_sub_f32 v255, vcc_lo, v2 :: v_dual_subrev_f32 v7, exec_hi, v3
// GFX1250: v_dual_sub_f32 v255, vcc_lo, v2 :: v_dual_subrev_f32 v7, exec_hi, v3 ; encoding: [0x6a,0x60,0x14,0xcf,0x7f,0x00,0x02,0x00,0xff,0x03,0x00,0x07]
// W64-ERR: :[[@LINE-2]]:1: error: instruction requires wavesize=32

v_dual_sub_f32 v255, src_scc, v2 :: v_dual_subrev_f32 v7, -1, v3
// GFX1250: v_dual_sub_f32 v255, src_scc, v2 :: v_dual_subrev_f32 v7, -1, v3 ; encoding: [0xfd,0x60,0x14,0xcf,0xc1,0x00,0x02,0x00,0xff,0x03,0x00,0x07]
// W64-ERR: :[[@LINE-2]]:1: error: instruction requires wavesize=32

v_dual_sub_f32 v255, 0.5, v3 :: v_dual_subrev_f32 v7, 0.5, v2
// GFX1250: v_dual_sub_f32 v255, 0.5, v3 :: v_dual_subrev_f32 v7, 0.5, v2 ; encoding: [0xf0,0x60,0x14,0xcf,0xf0,0x00,0x03,0x00,0xff,0x02,0x00,0x07]
// W64-ERR: :[[@LINE-2]]:1: error: instruction requires wavesize=32

v_dual_sub_f32 v255, -1, v4 :: v_dual_subrev_f32 v7, src_scc, v5
// GFX1250: v_dual_sub_f32 v255, -1, v4 :: v_dual_subrev_f32 v7, src_scc, v5 ; encoding: [0xc1,0x60,0x14,0xcf,0xfd,0x00,0x04,0x00,0xff,0x05,0x00,0x07]
// W64-ERR: :[[@LINE-2]]:1: error: instruction requires wavesize=32

v_dual_sub_f32 v255, v4, v2 :: v_dual_fma_f32 v7, v1, v3, v4
// GFX1250: v_dual_sub_f32 v255, v4, v2 :: v_dual_fma_f32 v7, v1, v3, v4 ; encoding: [0x04,0x31,0x15,0xcf,0x01,0x01,0x02,0x00,0xff,0x03,0x04,0x07]
// W64-ERR: :[[@LINE-2]]:1: error: instruction requires wavesize=32

v_dual_sub_f32 v255, v4, v2 :: v_dual_bitop2_b32 v7, v1, v3 bitop3:0x82
// GFX1250: v_dual_sub_f32 v255, v4, v2 :: v_dual_bitop2_b32 v7, v1, v3 bitop3:0x82 ; encoding: [0x04,0x21,0x15,0xcf,0x01,0x01,0x02,0x00,0xff,0x03,0x82,0x07]
// W64-ERR: :[[@LINE-2]]:1: error: instruction requires wavesize=32

v_dual_subrev_f32 v255, v4, v2 :: v_dual_add_f32 v7, v1, v3
// GFX1250: v_dual_subrev_f32 v255, v4, v2 :: v_dual_add_f32 v7, v1, v3 ; encoding: [0x04,0x41,0x18,0xcf,0x01,0x01,0x02,0x00,0xff,0x03,0x00,0x07]
// W64-ERR: :[[@LINE-2]]:1: error: instruction requires wavesize=32

v_dual_subrev_f32 v255, v1, v2 :: v_dual_add_f32 v7, v255, v3
// GFX1250: v_dual_subrev_f32 v255, v1, v2 :: v_dual_add_f32 v7, v255, v3 ; encoding: [0x01,0x41,0x18,0xcf,0xff,0x01,0x02,0x00,0xff,0x03,0x00,0x07]
	;; [unrolled: 4-line block ×7, first 2 shown]
// W64-ERR: :[[@LINE-2]]:1: error: instruction requires wavesize=32

v_dual_subrev_f32 v255, ttmp15, v2 :: v_dual_add_f32 v7, vcc_lo, v3
// GFX1250: v_dual_subrev_f32 v255, ttmp15, v2 :: v_dual_add_f32 v7, vcc_lo, v3 ; encoding: [0x7b,0x40,0x18,0xcf,0x6a,0x00,0x02,0x00,0xff,0x03,0x00,0x07]
// W64-ERR: :[[@LINE-2]]:1: error: instruction requires wavesize=32

v_dual_subrev_f32 v255, exec_hi, v2 :: v_dual_add_f32 v7, vcc_hi, v3
// GFX1250: v_dual_subrev_f32 v255, exec_hi, v2 :: v_dual_add_f32 v7, vcc_hi, v3 ; encoding: [0x7f,0x40,0x18,0xcf,0x6b,0x00,0x02,0x00,0xff,0x03,0x00,0x07]
// W64-ERR: :[[@LINE-2]]:1: error: instruction requires wavesize=32

v_dual_subrev_f32 v255, exec_lo, v2 :: v_dual_add_f32 v7, ttmp15, v3
// GFX1250: v_dual_subrev_f32 v255, exec_lo, v2 :: v_dual_add_f32 v7, ttmp15, v3 ; encoding: [0x7e,0x40,0x18,0xcf,0x7b,0x00,0x02,0x00,0xff,0x03,0x00,0x07]
// W64-ERR: :[[@LINE-2]]:1: error: instruction requires wavesize=32

v_dual_subrev_f32 v255, m0, v2 :: v_dual_add_f32 v7, m0, v3
// GFX1250: v_dual_subrev_f32 v255, m0, v2 :: v_dual_add_f32 v7, m0, v3 ; encoding: [0x7d,0x40,0x18,0xcf,0x7d,0x00,0x02,0x00,0xff,0x03,0x00,0x07]
// W64-ERR: :[[@LINE-2]]:1: error: instruction requires wavesize=32

v_dual_subrev_f32 v255, vcc_hi, v2 :: v_dual_add_f32 v7, exec_lo, v3
// GFX1250: v_dual_subrev_f32 v255, vcc_hi, v2 :: v_dual_add_f32 v7, exec_lo, v3 ; encoding: [0x6b,0x40,0x18,0xcf,0x7e,0x00,0x02,0x00,0xff,0x03,0x00,0x07]
// W64-ERR: :[[@LINE-2]]:1: error: instruction requires wavesize=32

v_dual_subrev_f32 v255, vcc_lo, v2 :: v_dual_add_f32 v7, exec_hi, v3
// GFX1250: v_dual_subrev_f32 v255, vcc_lo, v2 :: v_dual_add_f32 v7, exec_hi, v3 ; encoding: [0x6a,0x40,0x18,0xcf,0x7f,0x00,0x02,0x00,0xff,0x03,0x00,0x07]
// W64-ERR: :[[@LINE-2]]:1: error: instruction requires wavesize=32

v_dual_subrev_f32 v255, src_scc, v2 :: v_dual_add_f32 v7, -1, v3
// GFX1250: v_dual_subrev_f32 v255, src_scc, v2 :: v_dual_add_f32 v7, -1, v3 ; encoding: [0xfd,0x40,0x18,0xcf,0xc1,0x00,0x02,0x00,0xff,0x03,0x00,0x07]
// W64-ERR: :[[@LINE-2]]:1: error: instruction requires wavesize=32

v_dual_subrev_f32 v255, 0.5, v3 :: v_dual_add_f32 v7, 0.5, v2
// GFX1250: v_dual_subrev_f32 v255, 0.5, v3 :: v_dual_add_f32 v7, 0.5, v2 ; encoding: [0xf0,0x40,0x18,0xcf,0xf0,0x00,0x03,0x00,0xff,0x02,0x00,0x07]
// W64-ERR: :[[@LINE-2]]:1: error: instruction requires wavesize=32

v_dual_subrev_f32 v255, -1, v4 :: v_dual_add_f32 v7, src_scc, v5
// GFX1250: v_dual_subrev_f32 v255, -1, v4 :: v_dual_add_f32 v7, src_scc, v5 ; encoding: [0xc1,0x40,0x18,0xcf,0xfd,0x00,0x04,0x00,0xff,0x05,0x00,0x07]
// W64-ERR: :[[@LINE-2]]:1: error: instruction requires wavesize=32

v_dual_subrev_f32 v255, v4, v2 :: v_dual_add_nc_u32 v7, v1, v3
// GFX1250: v_dual_subrev_f32 v255, v4, v2 :: v_dual_add_nc_u32 v7, v1, v3 ; encoding: [0x04,0x01,0x19,0xcf,0x01,0x01,0x02,0x00,0xff,0x03,0x00,0x07]
// W64-ERR: :[[@LINE-2]]:1: error: instruction requires wavesize=32

v_dual_subrev_f32 v255, v1, v2 :: v_dual_add_nc_u32 v7, v255, v3
// GFX1250: v_dual_subrev_f32 v255, v1, v2 :: v_dual_add_nc_u32 v7, v255, v3 ; encoding: [0x01,0x01,0x19,0xcf,0xff,0x01,0x02,0x00,0xff,0x03,0x00,0x07]
// W64-ERR: :[[@LINE-2]]:1: error: instruction requires wavesize=32

v_dual_subrev_f32 v255, v255, v2 :: v_dual_add_nc_u32 v7, v2, v3
// GFX1250: v_dual_subrev_f32 v255, v255, v2 :: v_dual_add_nc_u32 v7, v2, v3 ; encoding: [0xff,0x01,0x19,0xcf,0x02,0x01,0x02,0x00,0xff,0x03,0x00,0x07]
// W64-ERR: :[[@LINE-2]]:1: error: instruction requires wavesize=32

v_dual_subrev_f32 v255, v2, v2 :: v_dual_add_nc_u32 v7, v3, v3
// GFX1250: v_dual_subrev_f32 v255, v2, v2 :: v_dual_add_nc_u32 v7, v3, v3 ; encoding: [0x02,0x01,0x19,0xcf,0x03,0x01,0x02,0x00,0xff,0x03,0x00,0x07]
// W64-ERR: :[[@LINE-2]]:1: error: instruction requires wavesize=32

v_dual_subrev_f32 v255, v3, v2 :: v_dual_add_nc_u32 v7, v4, v3
// GFX1250: v_dual_subrev_f32 v255, v3, v2 :: v_dual_add_nc_u32 v7, v4, v3 ; encoding: [0x03,0x01,0x19,0xcf,0x04,0x01,0x02,0x00,0xff,0x03,0x00,0x07]
// W64-ERR: :[[@LINE-2]]:1: error: instruction requires wavesize=32

v_dual_subrev_f32 v255, s105, v2 :: v_dual_add_nc_u32 v7, s1, v3
// GFX1250: v_dual_subrev_f32 v255, s105, v2 :: v_dual_add_nc_u32 v7, s1, v3 ; encoding: [0x69,0x00,0x19,0xcf,0x01,0x00,0x02,0x00,0xff,0x03,0x00,0x07]
// W64-ERR: :[[@LINE-2]]:1: error: instruction requires wavesize=32

v_dual_subrev_f32 v255, s1, v2 :: v_dual_add_nc_u32 v7, s105, v3
// GFX1250: v_dual_subrev_f32 v255, s1, v2 :: v_dual_add_nc_u32 v7, s105, v3 ; encoding: [0x01,0x00,0x19,0xcf,0x69,0x00,0x02,0x00,0xff,0x03,0x00,0x07]
// W64-ERR: :[[@LINE-2]]:1: error: instruction requires wavesize=32

v_dual_subrev_f32 v255, ttmp15, v2 :: v_dual_add_nc_u32 v7, vcc_lo, v3
// GFX1250: v_dual_subrev_f32 v255, ttmp15, v2 :: v_dual_add_nc_u32 v7, vcc_lo, v3 ; encoding: [0x7b,0x00,0x19,0xcf,0x6a,0x00,0x02,0x00,0xff,0x03,0x00,0x07]
// W64-ERR: :[[@LINE-2]]:1: error: instruction requires wavesize=32

v_dual_subrev_f32 v255, exec_hi, v2 :: v_dual_add_nc_u32 v7, vcc_hi, v3
// GFX1250: v_dual_subrev_f32 v255, exec_hi, v2 :: v_dual_add_nc_u32 v7, vcc_hi, v3 ; encoding: [0x7f,0x00,0x19,0xcf,0x6b,0x00,0x02,0x00,0xff,0x03,0x00,0x07]
// W64-ERR: :[[@LINE-2]]:1: error: instruction requires wavesize=32

v_dual_subrev_f32 v255, exec_lo, v2 :: v_dual_add_nc_u32 v7, ttmp15, v3
// GFX1250: v_dual_subrev_f32 v255, exec_lo, v2 :: v_dual_add_nc_u32 v7, ttmp15, v3 ; encoding: [0x7e,0x00,0x19,0xcf,0x7b,0x00,0x02,0x00,0xff,0x03,0x00,0x07]
// W64-ERR: :[[@LINE-2]]:1: error: instruction requires wavesize=32

v_dual_subrev_f32 v255, m0, v2 :: v_dual_add_nc_u32 v7, m0, v3
// GFX1250: v_dual_subrev_f32 v255, m0, v2 :: v_dual_add_nc_u32 v7, m0, v3 ; encoding: [0x7d,0x00,0x19,0xcf,0x7d,0x00,0x02,0x00,0xff,0x03,0x00,0x07]
// W64-ERR: :[[@LINE-2]]:1: error: instruction requires wavesize=32

v_dual_subrev_f32 v255, vcc_hi, v2 :: v_dual_add_nc_u32 v7, exec_lo, v3
// GFX1250: v_dual_subrev_f32 v255, vcc_hi, v2 :: v_dual_add_nc_u32 v7, exec_lo, v3 ; encoding: [0x6b,0x00,0x19,0xcf,0x7e,0x00,0x02,0x00,0xff,0x03,0x00,0x07]
// W64-ERR: :[[@LINE-2]]:1: error: instruction requires wavesize=32

v_dual_subrev_f32 v255, vcc_lo, v2 :: v_dual_add_nc_u32 v7, exec_hi, v3
// GFX1250: v_dual_subrev_f32 v255, vcc_lo, v2 :: v_dual_add_nc_u32 v7, exec_hi, v3 ; encoding: [0x6a,0x00,0x19,0xcf,0x7f,0x00,0x02,0x00,0xff,0x03,0x00,0x07]
// W64-ERR: :[[@LINE-2]]:1: error: instruction requires wavesize=32

v_dual_subrev_f32 v255, src_scc, v2 :: v_dual_add_nc_u32 v7, -1, v3
// GFX1250: v_dual_subrev_f32 v255, src_scc, v2 :: v_dual_add_nc_u32 v7, -1, v3 ; encoding: [0xfd,0x00,0x19,0xcf,0xc1,0x00,0x02,0x00,0xff,0x03,0x00,0x07]
// W64-ERR: :[[@LINE-2]]:1: error: instruction requires wavesize=32

v_dual_subrev_f32 v255, 0.5, v3 :: v_dual_add_nc_u32 v7, 0.5, v2
// GFX1250: v_dual_subrev_f32 v255, 0.5, v3 :: v_dual_add_nc_u32 v7, 0.5, v2 ; encoding: [0xf0,0x00,0x19,0xcf,0xf0,0x00,0x03,0x00,0xff,0x02,0x00,0x07]
// W64-ERR: :[[@LINE-2]]:1: error: instruction requires wavesize=32

v_dual_subrev_f32 v255, -1, v4 :: v_dual_add_nc_u32 v7, src_scc, v5
// GFX1250: v_dual_subrev_f32 v255, -1, v4 :: v_dual_add_nc_u32 v7, src_scc, v5 ; encoding: [0xc1,0x00,0x19,0xcf,0xfd,0x00,0x04,0x00,0xff,0x05,0x00,0x07]
// W64-ERR: :[[@LINE-2]]:1: error: instruction requires wavesize=32

v_dual_subrev_f32 v255, v4, v2 :: v_dual_cndmask_b32 v7, v1, v3, vcc_lo
// GFX1250: v_dual_subrev_f32 v255, v4, v2 :: v_dual_cndmask_b32 v7, v1, v3, vcc_lo ; encoding: [0x04,0x91,0x18,0xcf,0x01,0x01,0x02,0x00,0xff,0x03,0x6a,0x07]
// W64-ERR: :[[@LINE-2]]:1: error: instruction requires wavesize=32

v_dual_subrev_f32 v255, v1, v2 :: v_dual_cndmask_b32 v7, v255, v3, vcc_lo
// GFX1250: v_dual_subrev_f32 v255, v1, v2 :: v_dual_cndmask_b32 v7, v255, v3, vcc_lo ; encoding: [0x01,0x91,0x18,0xcf,0xff,0x01,0x02,0x00,0xff,0x03,0x6a,0x07]
	;; [unrolled: 4-line block ×7, first 2 shown]
// W64-ERR: :[[@LINE-2]]:1: error: instruction requires wavesize=32

v_dual_subrev_f32 v255, ttmp15, v2 :: v_dual_cndmask_b32 v7, ttmp15, v3, vcc_lo
// GFX1250: v_dual_subrev_f32 v255, ttmp15, v2 :: v_dual_cndmask_b32 v7, ttmp15, v3, vcc_lo ; encoding: [0x7b,0x90,0x18,0xcf,0x7b,0x00,0x02,0x00,0xff,0x03,0x6a,0x07]
// W64-ERR: :[[@LINE-2]]:1: error: instruction requires wavesize=32

v_dual_subrev_f32 v255, exec_hi, v2 :: v_dual_cndmask_b32 v7, exec_hi, v3, vcc_lo
// GFX1250: v_dual_subrev_f32 v255, exec_hi, v2 :: v_dual_cndmask_b32 v7, exec_hi, v3, vcc_lo ; encoding: [0x7f,0x90,0x18,0xcf,0x7f,0x00,0x02,0x00,0xff,0x03,0x6a,0x07]
// W64-ERR: :[[@LINE-2]]:1: error: instruction requires wavesize=32

v_dual_subrev_f32 v255, exec_lo, v2 :: v_dual_cndmask_b32 v7, exec_lo, v3, vcc_lo
// GFX1250: v_dual_subrev_f32 v255, exec_lo, v2 :: v_dual_cndmask_b32 v7, exec_lo, v3, vcc_lo ; encoding: [0x7e,0x90,0x18,0xcf,0x7e,0x00,0x02,0x00,0xff,0x03,0x6a,0x07]
// W64-ERR: :[[@LINE-2]]:1: error: instruction requires wavesize=32

v_dual_subrev_f32 v255, m0, v2 :: v_dual_cndmask_b32 v7, m0, v3, vcc_lo
// GFX1250: v_dual_subrev_f32 v255, m0, v2 :: v_dual_cndmask_b32 v7, m0, v3, vcc_lo ; encoding: [0x7d,0x90,0x18,0xcf,0x7d,0x00,0x02,0x00,0xff,0x03,0x6a,0x07]
// W64-ERR: :[[@LINE-2]]:1: error: instruction requires wavesize=32

v_dual_subrev_f32 v255, vcc_hi, v2 :: v_dual_cndmask_b32 v7, vcc_hi, v3, vcc_lo
// GFX1250: v_dual_subrev_f32 v255, vcc_hi, v2 :: v_dual_cndmask_b32 v7, vcc_hi, v3, vcc_lo ; encoding: [0x6b,0x90,0x18,0xcf,0x6b,0x00,0x02,0x00,0xff,0x03,0x6a,0x07]
// W64-ERR: :[[@LINE-2]]:1: error: instruction requires wavesize=32

v_dual_subrev_f32 v255, vcc_lo, v2 :: v_dual_cndmask_b32 v7, vcc_lo, v3, vcc_lo
// GFX1250: v_dual_subrev_f32 v255, vcc_lo, v2 :: v_dual_cndmask_b32 v7, vcc_lo, v3, vcc_lo ; encoding: [0x6a,0x90,0x18,0xcf,0x6a,0x00,0x02,0x00,0xff,0x03,0x6a,0x07]
// W64-ERR: :[[@LINE-2]]:1: error: instruction requires wavesize=32

v_dual_subrev_f32 v255, src_scc, v2 :: v_dual_cndmask_b32 v7, -1, v3, vcc_lo
// GFX1250: v_dual_subrev_f32 v255, src_scc, v2 :: v_dual_cndmask_b32 v7, -1, v3, vcc_lo ; encoding: [0xfd,0x90,0x18,0xcf,0xc1,0x00,0x02,0x00,0xff,0x03,0x6a,0x07]
// W64-ERR: :[[@LINE-2]]:1: error: instruction requires wavesize=32

v_dual_subrev_f32 v255, 0.5, v3 :: v_dual_cndmask_b32 v7, 0.5, v2, vcc_lo
// GFX1250: v_dual_subrev_f32 v255, 0.5, v3 :: v_dual_cndmask_b32 v7, 0.5, v2, vcc_lo ; encoding: [0xf0,0x90,0x18,0xcf,0xf0,0x00,0x03,0x00,0xff,0x02,0x6a,0x07]
// W64-ERR: :[[@LINE-2]]:1: error: instruction requires wavesize=32

v_dual_subrev_f32 v255, -1, v4 :: v_dual_cndmask_b32 v7, src_scc, v5, vcc_lo
// GFX1250: v_dual_subrev_f32 v255, -1, v4 :: v_dual_cndmask_b32 v7, src_scc, v5, vcc_lo ; encoding: [0xc1,0x90,0x18,0xcf,0xfd,0x00,0x04,0x00,0xff,0x05,0x6a,0x07]
// W64-ERR: :[[@LINE-2]]:1: error: instruction requires wavesize=32

v_dual_subrev_f32 v255, v4, v2 :: v_dual_fmac_f32 v7, v1, v3
// GFX1250: v_dual_subrev_f32 v255, v4, v2 :: v_dual_fmac_f32 v7, v1, v3 ; encoding: [0x04,0x01,0x18,0xcf,0x01,0x01,0x02,0x00,0xff,0x03,0x00,0x07]
// W64-ERR: :[[@LINE-2]]:1: error: instruction requires wavesize=32

v_dual_subrev_f32 v255, v1, v2 :: v_dual_fmac_f32 v7, v255, v3
// GFX1250: v_dual_subrev_f32 v255, v1, v2 :: v_dual_fmac_f32 v7, v255, v3 ; encoding: [0x01,0x01,0x18,0xcf,0xff,0x01,0x02,0x00,0xff,0x03,0x00,0x07]
	;; [unrolled: 4-line block ×7, first 2 shown]
// W64-ERR: :[[@LINE-2]]:1: error: instruction requires wavesize=32

v_dual_subrev_f32 v255, ttmp15, v2 :: v_dual_fmac_f32 v7, vcc_lo, v3
// GFX1250: v_dual_subrev_f32 v255, ttmp15, v2 :: v_dual_fmac_f32 v7, vcc_lo, v3 ; encoding: [0x7b,0x00,0x18,0xcf,0x6a,0x00,0x02,0x00,0xff,0x03,0x00,0x07]
// W64-ERR: :[[@LINE-2]]:1: error: instruction requires wavesize=32

v_dual_subrev_f32 v255, exec_hi, v2 :: v_dual_fmac_f32 v7, vcc_hi, v3
// GFX1250: v_dual_subrev_f32 v255, exec_hi, v2 :: v_dual_fmac_f32 v7, vcc_hi, v3 ; encoding: [0x7f,0x00,0x18,0xcf,0x6b,0x00,0x02,0x00,0xff,0x03,0x00,0x07]
// W64-ERR: :[[@LINE-2]]:1: error: instruction requires wavesize=32

v_dual_subrev_f32 v255, exec_lo, v2 :: v_dual_fmac_f32 v7, ttmp15, v3
// GFX1250: v_dual_subrev_f32 v255, exec_lo, v2 :: v_dual_fmac_f32 v7, ttmp15, v3 ; encoding: [0x7e,0x00,0x18,0xcf,0x7b,0x00,0x02,0x00,0xff,0x03,0x00,0x07]
// W64-ERR: :[[@LINE-2]]:1: error: instruction requires wavesize=32

v_dual_subrev_f32 v255, m0, v2 :: v_dual_fmac_f32 v7, m0, v3
// GFX1250: v_dual_subrev_f32 v255, m0, v2 :: v_dual_fmac_f32 v7, m0, v3 ; encoding: [0x7d,0x00,0x18,0xcf,0x7d,0x00,0x02,0x00,0xff,0x03,0x00,0x07]
// W64-ERR: :[[@LINE-2]]:1: error: instruction requires wavesize=32

v_dual_subrev_f32 v255, vcc_hi, v2 :: v_dual_fmac_f32 v7, exec_lo, v3
// GFX1250: v_dual_subrev_f32 v255, vcc_hi, v2 :: v_dual_fmac_f32 v7, exec_lo, v3 ; encoding: [0x6b,0x00,0x18,0xcf,0x7e,0x00,0x02,0x00,0xff,0x03,0x00,0x07]
// W64-ERR: :[[@LINE-2]]:1: error: instruction requires wavesize=32

v_dual_subrev_f32 v255, vcc_lo, v2 :: v_dual_fmac_f32 v7, exec_hi, v3
// GFX1250: v_dual_subrev_f32 v255, vcc_lo, v2 :: v_dual_fmac_f32 v7, exec_hi, v3 ; encoding: [0x6a,0x00,0x18,0xcf,0x7f,0x00,0x02,0x00,0xff,0x03,0x00,0x07]
// W64-ERR: :[[@LINE-2]]:1: error: instruction requires wavesize=32

v_dual_subrev_f32 v255, src_scc, v2 :: v_dual_fmac_f32 v7, -1, v3
// GFX1250: v_dual_subrev_f32 v255, src_scc, v2 :: v_dual_fmac_f32 v7, -1, v3 ; encoding: [0xfd,0x00,0x18,0xcf,0xc1,0x00,0x02,0x00,0xff,0x03,0x00,0x07]
// W64-ERR: :[[@LINE-2]]:1: error: instruction requires wavesize=32

v_dual_subrev_f32 v255, 0.5, v3 :: v_dual_fmac_f32 v7, 0.5, v2
// GFX1250: v_dual_subrev_f32 v255, 0.5, v3 :: v_dual_fmac_f32 v7, 0.5, v2 ; encoding: [0xf0,0x00,0x18,0xcf,0xf0,0x00,0x03,0x00,0xff,0x02,0x00,0x07]
// W64-ERR: :[[@LINE-2]]:1: error: instruction requires wavesize=32

v_dual_subrev_f32 v255, -1, v4 :: v_dual_fmac_f32 v7, src_scc, v5
// GFX1250: v_dual_subrev_f32 v255, -1, v4 :: v_dual_fmac_f32 v7, src_scc, v5 ; encoding: [0xc1,0x00,0x18,0xcf,0xfd,0x00,0x04,0x00,0xff,0x05,0x00,0x07]
// W64-ERR: :[[@LINE-2]]:1: error: instruction requires wavesize=32

v_dual_subrev_f32 v255, v4, v2 :: v_dual_lshlrev_b32 v7, v1, v3
// GFX1250: v_dual_subrev_f32 v255, v4, v2 :: v_dual_lshlrev_b32 v7, v1, v3 ; encoding: [0x04,0x11,0x19,0xcf,0x01,0x01,0x02,0x00,0xff,0x03,0x00,0x07]
// W64-ERR: :[[@LINE-2]]:1: error: instruction requires wavesize=32

v_dual_subrev_f32 v255, v1, v2 :: v_dual_lshlrev_b32 v7, v255, v3
// GFX1250: v_dual_subrev_f32 v255, v1, v2 :: v_dual_lshlrev_b32 v7, v255, v3 ; encoding: [0x01,0x11,0x19,0xcf,0xff,0x01,0x02,0x00,0xff,0x03,0x00,0x07]
	;; [unrolled: 4-line block ×7, first 2 shown]
// W64-ERR: :[[@LINE-2]]:1: error: instruction requires wavesize=32

v_dual_subrev_f32 v255, ttmp15, v2 :: v_dual_lshlrev_b32 v7, vcc_lo, v3
// GFX1250: v_dual_subrev_f32 v255, ttmp15, v2 :: v_dual_lshlrev_b32 v7, vcc_lo, v3 ; encoding: [0x7b,0x10,0x19,0xcf,0x6a,0x00,0x02,0x00,0xff,0x03,0x00,0x07]
// W64-ERR: :[[@LINE-2]]:1: error: instruction requires wavesize=32

v_dual_subrev_f32 v255, exec_hi, v2 :: v_dual_lshlrev_b32 v7, vcc_hi, v3
// GFX1250: v_dual_subrev_f32 v255, exec_hi, v2 :: v_dual_lshlrev_b32 v7, vcc_hi, v3 ; encoding: [0x7f,0x10,0x19,0xcf,0x6b,0x00,0x02,0x00,0xff,0x03,0x00,0x07]
// W64-ERR: :[[@LINE-2]]:1: error: instruction requires wavesize=32

v_dual_subrev_f32 v255, exec_lo, v2 :: v_dual_lshlrev_b32 v7, ttmp15, v3
// GFX1250: v_dual_subrev_f32 v255, exec_lo, v2 :: v_dual_lshlrev_b32 v7, ttmp15, v3 ; encoding: [0x7e,0x10,0x19,0xcf,0x7b,0x00,0x02,0x00,0xff,0x03,0x00,0x07]
// W64-ERR: :[[@LINE-2]]:1: error: instruction requires wavesize=32

v_dual_subrev_f32 v255, m0, v2 :: v_dual_lshlrev_b32 v7, m0, v3
// GFX1250: v_dual_subrev_f32 v255, m0, v2 :: v_dual_lshlrev_b32 v7, m0, v3 ; encoding: [0x7d,0x10,0x19,0xcf,0x7d,0x00,0x02,0x00,0xff,0x03,0x00,0x07]
// W64-ERR: :[[@LINE-2]]:1: error: instruction requires wavesize=32

v_dual_subrev_f32 v255, vcc_hi, v2 :: v_dual_lshlrev_b32 v7, exec_lo, v3
// GFX1250: v_dual_subrev_f32 v255, vcc_hi, v2 :: v_dual_lshlrev_b32 v7, exec_lo, v3 ; encoding: [0x6b,0x10,0x19,0xcf,0x7e,0x00,0x02,0x00,0xff,0x03,0x00,0x07]
// W64-ERR: :[[@LINE-2]]:1: error: instruction requires wavesize=32

v_dual_subrev_f32 v255, vcc_lo, v2 :: v_dual_lshlrev_b32 v7, exec_hi, v3
// GFX1250: v_dual_subrev_f32 v255, vcc_lo, v2 :: v_dual_lshlrev_b32 v7, exec_hi, v3 ; encoding: [0x6a,0x10,0x19,0xcf,0x7f,0x00,0x02,0x00,0xff,0x03,0x00,0x07]
// W64-ERR: :[[@LINE-2]]:1: error: instruction requires wavesize=32

v_dual_subrev_f32 v255, src_scc, v2 :: v_dual_lshlrev_b32 v7, -1, v3
// GFX1250: v_dual_subrev_f32 v255, src_scc, v2 :: v_dual_lshlrev_b32 v7, -1, v3 ; encoding: [0xfd,0x10,0x19,0xcf,0xc1,0x00,0x02,0x00,0xff,0x03,0x00,0x07]
// W64-ERR: :[[@LINE-2]]:1: error: instruction requires wavesize=32

v_dual_subrev_f32 v255, 0.5, v3 :: v_dual_lshlrev_b32 v7, 0.5, v2
// GFX1250: v_dual_subrev_f32 v255, 0.5, v3 :: v_dual_lshlrev_b32 v7, 0.5, v2 ; encoding: [0xf0,0x10,0x19,0xcf,0xf0,0x00,0x03,0x00,0xff,0x02,0x00,0x07]
// W64-ERR: :[[@LINE-2]]:1: error: instruction requires wavesize=32

v_dual_subrev_f32 v255, -1, v4 :: v_dual_lshlrev_b32 v7, src_scc, v5
// GFX1250: v_dual_subrev_f32 v255, -1, v4 :: v_dual_lshlrev_b32 v7, src_scc, v5 ; encoding: [0xc1,0x10,0x19,0xcf,0xfd,0x00,0x04,0x00,0xff,0x05,0x00,0x07]
// W64-ERR: :[[@LINE-2]]:1: error: instruction requires wavesize=32

v_dual_subrev_f32 v255, v4, v2 :: v_dual_max_num_f32 v7, v1, v3
// GFX1250: v_dual_subrev_f32 v255, v4, v2 :: v_dual_max_num_f32 v7, v1, v3 ; encoding: [0x04,0xa1,0x18,0xcf,0x01,0x01,0x02,0x00,0xff,0x03,0x00,0x07]
// W64-ERR: :[[@LINE-2]]:1: error: instruction requires wavesize=32

v_dual_subrev_f32 v255, v1, v2 :: v_dual_max_num_f32 v7, v255, v3
// GFX1250: v_dual_subrev_f32 v255, v1, v2 :: v_dual_max_num_f32 v7, v255, v3 ; encoding: [0x01,0xa1,0x18,0xcf,0xff,0x01,0x02,0x00,0xff,0x03,0x00,0x07]
	;; [unrolled: 4-line block ×7, first 2 shown]
// W64-ERR: :[[@LINE-2]]:1: error: instruction requires wavesize=32

v_dual_subrev_f32 v255, ttmp15, v2 :: v_dual_max_num_f32 v7, vcc_lo, v3
// GFX1250: v_dual_subrev_f32 v255, ttmp15, v2 :: v_dual_max_num_f32 v7, vcc_lo, v3 ; encoding: [0x7b,0xa0,0x18,0xcf,0x6a,0x00,0x02,0x00,0xff,0x03,0x00,0x07]
// W64-ERR: :[[@LINE-2]]:1: error: instruction requires wavesize=32

v_dual_subrev_f32 v255, exec_hi, v2 :: v_dual_max_num_f32 v7, vcc_hi, v3
// GFX1250: v_dual_subrev_f32 v255, exec_hi, v2 :: v_dual_max_num_f32 v7, vcc_hi, v3 ; encoding: [0x7f,0xa0,0x18,0xcf,0x6b,0x00,0x02,0x00,0xff,0x03,0x00,0x07]
// W64-ERR: :[[@LINE-2]]:1: error: instruction requires wavesize=32

v_dual_subrev_f32 v255, exec_lo, v2 :: v_dual_max_num_f32 v7, ttmp15, v3
// GFX1250: v_dual_subrev_f32 v255, exec_lo, v2 :: v_dual_max_num_f32 v7, ttmp15, v3 ; encoding: [0x7e,0xa0,0x18,0xcf,0x7b,0x00,0x02,0x00,0xff,0x03,0x00,0x07]
// W64-ERR: :[[@LINE-2]]:1: error: instruction requires wavesize=32

v_dual_subrev_f32 v255, m0, v2 :: v_dual_max_num_f32 v7, m0, v3
// GFX1250: v_dual_subrev_f32 v255, m0, v2 :: v_dual_max_num_f32 v7, m0, v3 ; encoding: [0x7d,0xa0,0x18,0xcf,0x7d,0x00,0x02,0x00,0xff,0x03,0x00,0x07]
// W64-ERR: :[[@LINE-2]]:1: error: instruction requires wavesize=32

v_dual_subrev_f32 v255, vcc_hi, v2 :: v_dual_max_num_f32 v7, exec_lo, v3
// GFX1250: v_dual_subrev_f32 v255, vcc_hi, v2 :: v_dual_max_num_f32 v7, exec_lo, v3 ; encoding: [0x6b,0xa0,0x18,0xcf,0x7e,0x00,0x02,0x00,0xff,0x03,0x00,0x07]
// W64-ERR: :[[@LINE-2]]:1: error: instruction requires wavesize=32

v_dual_subrev_f32 v255, vcc_lo, v2 :: v_dual_max_num_f32 v7, exec_hi, v3
// GFX1250: v_dual_subrev_f32 v255, vcc_lo, v2 :: v_dual_max_num_f32 v7, exec_hi, v3 ; encoding: [0x6a,0xa0,0x18,0xcf,0x7f,0x00,0x02,0x00,0xff,0x03,0x00,0x07]
// W64-ERR: :[[@LINE-2]]:1: error: instruction requires wavesize=32

v_dual_subrev_f32 v255, src_scc, v2 :: v_dual_max_num_f32 v7, -1, v3
// GFX1250: v_dual_subrev_f32 v255, src_scc, v2 :: v_dual_max_num_f32 v7, -1, v3 ; encoding: [0xfd,0xa0,0x18,0xcf,0xc1,0x00,0x02,0x00,0xff,0x03,0x00,0x07]
// W64-ERR: :[[@LINE-2]]:1: error: instruction requires wavesize=32

v_dual_subrev_f32 v255, 0.5, v3 :: v_dual_max_num_f32 v7, 0.5, v2
// GFX1250: v_dual_subrev_f32 v255, 0.5, v3 :: v_dual_max_num_f32 v7, 0.5, v2 ; encoding: [0xf0,0xa0,0x18,0xcf,0xf0,0x00,0x03,0x00,0xff,0x02,0x00,0x07]
// W64-ERR: :[[@LINE-2]]:1: error: instruction requires wavesize=32

v_dual_subrev_f32 v255, -1, v4 :: v_dual_max_num_f32 v7, src_scc, v5
// GFX1250: v_dual_subrev_f32 v255, -1, v4 :: v_dual_max_num_f32 v7, src_scc, v5 ; encoding: [0xc1,0xa0,0x18,0xcf,0xfd,0x00,0x04,0x00,0xff,0x05,0x00,0x07]
// W64-ERR: :[[@LINE-2]]:1: error: instruction requires wavesize=32

v_dual_subrev_f32 v255, v4, v2 :: v_dual_min_num_f32 v7, v1, v3
// GFX1250: v_dual_subrev_f32 v255, v4, v2 :: v_dual_min_num_f32 v7, v1, v3 ; encoding: [0x04,0xb1,0x18,0xcf,0x01,0x01,0x02,0x00,0xff,0x03,0x00,0x07]
// W64-ERR: :[[@LINE-2]]:1: error: instruction requires wavesize=32

v_dual_subrev_f32 v255, v1, v2 :: v_dual_min_num_f32 v7, v255, v3
// GFX1250: v_dual_subrev_f32 v255, v1, v2 :: v_dual_min_num_f32 v7, v255, v3 ; encoding: [0x01,0xb1,0x18,0xcf,0xff,0x01,0x02,0x00,0xff,0x03,0x00,0x07]
	;; [unrolled: 4-line block ×7, first 2 shown]
// W64-ERR: :[[@LINE-2]]:1: error: instruction requires wavesize=32

v_dual_subrev_f32 v255, ttmp15, v2 :: v_dual_min_num_f32 v7, vcc_lo, v3
// GFX1250: v_dual_subrev_f32 v255, ttmp15, v2 :: v_dual_min_num_f32 v7, vcc_lo, v3 ; encoding: [0x7b,0xb0,0x18,0xcf,0x6a,0x00,0x02,0x00,0xff,0x03,0x00,0x07]
// W64-ERR: :[[@LINE-2]]:1: error: instruction requires wavesize=32

v_dual_subrev_f32 v255, exec_hi, v2 :: v_dual_min_num_f32 v7, vcc_hi, v3
// GFX1250: v_dual_subrev_f32 v255, exec_hi, v2 :: v_dual_min_num_f32 v7, vcc_hi, v3 ; encoding: [0x7f,0xb0,0x18,0xcf,0x6b,0x00,0x02,0x00,0xff,0x03,0x00,0x07]
// W64-ERR: :[[@LINE-2]]:1: error: instruction requires wavesize=32

v_dual_subrev_f32 v255, exec_lo, v2 :: v_dual_min_num_f32 v7, ttmp15, v3
// GFX1250: v_dual_subrev_f32 v255, exec_lo, v2 :: v_dual_min_num_f32 v7, ttmp15, v3 ; encoding: [0x7e,0xb0,0x18,0xcf,0x7b,0x00,0x02,0x00,0xff,0x03,0x00,0x07]
// W64-ERR: :[[@LINE-2]]:1: error: instruction requires wavesize=32

v_dual_subrev_f32 v255, m0, v2 :: v_dual_min_num_f32 v7, m0, v3
// GFX1250: v_dual_subrev_f32 v255, m0, v2 :: v_dual_min_num_f32 v7, m0, v3 ; encoding: [0x7d,0xb0,0x18,0xcf,0x7d,0x00,0x02,0x00,0xff,0x03,0x00,0x07]
// W64-ERR: :[[@LINE-2]]:1: error: instruction requires wavesize=32

v_dual_subrev_f32 v255, vcc_hi, v2 :: v_dual_min_num_f32 v7, exec_lo, v3
// GFX1250: v_dual_subrev_f32 v255, vcc_hi, v2 :: v_dual_min_num_f32 v7, exec_lo, v3 ; encoding: [0x6b,0xb0,0x18,0xcf,0x7e,0x00,0x02,0x00,0xff,0x03,0x00,0x07]
// W64-ERR: :[[@LINE-2]]:1: error: instruction requires wavesize=32

v_dual_subrev_f32 v255, vcc_lo, v2 :: v_dual_min_num_f32 v7, exec_hi, v3
// GFX1250: v_dual_subrev_f32 v255, vcc_lo, v2 :: v_dual_min_num_f32 v7, exec_hi, v3 ; encoding: [0x6a,0xb0,0x18,0xcf,0x7f,0x00,0x02,0x00,0xff,0x03,0x00,0x07]
// W64-ERR: :[[@LINE-2]]:1: error: instruction requires wavesize=32

v_dual_subrev_f32 v255, src_scc, v2 :: v_dual_min_num_f32 v7, -1, v3
// GFX1250: v_dual_subrev_f32 v255, src_scc, v2 :: v_dual_min_num_f32 v7, -1, v3 ; encoding: [0xfd,0xb0,0x18,0xcf,0xc1,0x00,0x02,0x00,0xff,0x03,0x00,0x07]
// W64-ERR: :[[@LINE-2]]:1: error: instruction requires wavesize=32

v_dual_subrev_f32 v255, 0.5, v3 :: v_dual_min_num_f32 v7, 0.5, v2
// GFX1250: v_dual_subrev_f32 v255, 0.5, v3 :: v_dual_min_num_f32 v7, 0.5, v2 ; encoding: [0xf0,0xb0,0x18,0xcf,0xf0,0x00,0x03,0x00,0xff,0x02,0x00,0x07]
// W64-ERR: :[[@LINE-2]]:1: error: instruction requires wavesize=32

v_dual_subrev_f32 v255, -1, v4 :: v_dual_min_num_f32 v7, src_scc, v5
// GFX1250: v_dual_subrev_f32 v255, -1, v4 :: v_dual_min_num_f32 v7, src_scc, v5 ; encoding: [0xc1,0xb0,0x18,0xcf,0xfd,0x00,0x04,0x00,0xff,0x05,0x00,0x07]
// W64-ERR: :[[@LINE-2]]:1: error: instruction requires wavesize=32

v_dual_subrev_f32 v255, v4, v255 :: v_dual_mov_b32 v7, v1
// GFX1250: v_dual_subrev_f32 v255, v4, v255 :: v_dual_mov_b32 v7, v1 ; encoding: [0x04,0x81,0x18,0xcf,0x01,0x01,0xff,0x00,0xff,0x00,0x00,0x07]
// W64-ERR: :[[@LINE-2]]:1: error: instruction requires wavesize=32

v_dual_subrev_f32 v255, v1, v255 :: v_dual_mov_b32 v7, v255
// GFX1250: v_dual_subrev_f32 v255, v1, v255 :: v_dual_mov_b32 v7, v255 ; encoding: [0x01,0x81,0x18,0xcf,0xff,0x01,0xff,0x00,0xff,0x00,0x00,0x07]
	;; [unrolled: 4-line block ×7, first 2 shown]
// W64-ERR: :[[@LINE-2]]:1: error: instruction requires wavesize=32

v_dual_subrev_f32 v255, ttmp15, v255 :: v_dual_mov_b32 v7, vcc_lo
// GFX1250: v_dual_subrev_f32 v255, ttmp15, v255 :: v_dual_mov_b32 v7, vcc_lo ; encoding: [0x7b,0x80,0x18,0xcf,0x6a,0x00,0xff,0x00,0xff,0x00,0x00,0x07]
// W64-ERR: :[[@LINE-2]]:1: error: instruction requires wavesize=32

v_dual_subrev_f32 v255, exec_hi, v255 :: v_dual_mov_b32 v7, vcc_hi
// GFX1250: v_dual_subrev_f32 v255, exec_hi, v255 :: v_dual_mov_b32 v7, vcc_hi ; encoding: [0x7f,0x80,0x18,0xcf,0x6b,0x00,0xff,0x00,0xff,0x00,0x00,0x07]
// W64-ERR: :[[@LINE-2]]:1: error: instruction requires wavesize=32

v_dual_subrev_f32 v255, exec_lo, v255 :: v_dual_mov_b32 v7, ttmp15
// GFX1250: v_dual_subrev_f32 v255, exec_lo, v255 :: v_dual_mov_b32 v7, ttmp15 ; encoding: [0x7e,0x80,0x18,0xcf,0x7b,0x00,0xff,0x00,0xff,0x00,0x00,0x07]
// W64-ERR: :[[@LINE-2]]:1: error: instruction requires wavesize=32

v_dual_subrev_f32 v255, m0, v255 :: v_dual_mov_b32 v7, m0
// GFX1250: v_dual_subrev_f32 v255, m0, v255 :: v_dual_mov_b32 v7, m0 ; encoding: [0x7d,0x80,0x18,0xcf,0x7d,0x00,0xff,0x00,0xff,0x00,0x00,0x07]
// W64-ERR: :[[@LINE-2]]:1: error: instruction requires wavesize=32

v_dual_subrev_f32 v255, vcc_hi, v255 :: v_dual_mov_b32 v7, exec_lo
// GFX1250: v_dual_subrev_f32 v255, vcc_hi, v255 :: v_dual_mov_b32 v7, exec_lo ; encoding: [0x6b,0x80,0x18,0xcf,0x7e,0x00,0xff,0x00,0xff,0x00,0x00,0x07]
// W64-ERR: :[[@LINE-2]]:1: error: instruction requires wavesize=32

v_dual_subrev_f32 v255, vcc_lo, v255 :: v_dual_mov_b32 v7, exec_hi
// GFX1250: v_dual_subrev_f32 v255, vcc_lo, v255 :: v_dual_mov_b32 v7, exec_hi ; encoding: [0x6a,0x80,0x18,0xcf,0x7f,0x00,0xff,0x00,0xff,0x00,0x00,0x07]
// W64-ERR: :[[@LINE-2]]:1: error: instruction requires wavesize=32

v_dual_subrev_f32 v255, src_scc, v255 :: v_dual_mov_b32 v7, -1
// GFX1250: v_dual_subrev_f32 v255, src_scc, v255 :: v_dual_mov_b32 v7, -1 ; encoding: [0xfd,0x80,0x18,0xcf,0xc1,0x00,0xff,0x00,0xff,0x00,0x00,0x07]
// W64-ERR: :[[@LINE-2]]:1: error: instruction requires wavesize=32

v_dual_subrev_f32 v255, 0.5, v3 :: v_dual_mov_b32 v7, 0.5
// GFX1250: v_dual_subrev_f32 v255, 0.5, v3 :: v_dual_mov_b32 v7, 0.5 ; encoding: [0xf0,0x80,0x18,0xcf,0xf0,0x00,0x03,0x00,0xff,0x00,0x00,0x07]
// W64-ERR: :[[@LINE-2]]:1: error: instruction requires wavesize=32

v_dual_subrev_f32 v255, -1, v4 :: v_dual_mov_b32 v7, src_scc
// GFX1250: v_dual_subrev_f32 v255, -1, v4 :: v_dual_mov_b32 v7, src_scc ; encoding: [0xc1,0x80,0x18,0xcf,0xfd,0x00,0x04,0x00,0xff,0x00,0x00,0x07]
// W64-ERR: :[[@LINE-2]]:1: error: instruction requires wavesize=32

v_dual_subrev_f32 v255, v4, v2 :: v_dual_mul_dx9_zero_f32 v7, v1, v3
// GFX1250: v_dual_subrev_f32 v255, v4, v2 :: v_dual_mul_dx9_zero_f32 v7, v1, v3 ; encoding: [0x04,0x71,0x18,0xcf,0x01,0x01,0x02,0x00,0xff,0x03,0x00,0x07]
// W64-ERR: :[[@LINE-2]]:1: error: instruction requires wavesize=32

v_dual_subrev_f32 v255, v1, v2 :: v_dual_mul_dx9_zero_f32 v7, v255, v3
// GFX1250: v_dual_subrev_f32 v255, v1, v2 :: v_dual_mul_dx9_zero_f32 v7, v255, v3 ; encoding: [0x01,0x71,0x18,0xcf,0xff,0x01,0x02,0x00,0xff,0x03,0x00,0x07]
	;; [unrolled: 4-line block ×7, first 2 shown]
// W64-ERR: :[[@LINE-2]]:1: error: instruction requires wavesize=32

v_dual_subrev_f32 v255, ttmp15, v2 :: v_dual_mul_dx9_zero_f32 v7, vcc_lo, v3
// GFX1250: v_dual_subrev_f32 v255, ttmp15, v2 :: v_dual_mul_dx9_zero_f32 v7, vcc_lo, v3 ; encoding: [0x7b,0x70,0x18,0xcf,0x6a,0x00,0x02,0x00,0xff,0x03,0x00,0x07]
// W64-ERR: :[[@LINE-2]]:1: error: instruction requires wavesize=32

v_dual_subrev_f32 v255, exec_hi, v2 :: v_dual_mul_dx9_zero_f32 v7, vcc_hi, v3
// GFX1250: v_dual_subrev_f32 v255, exec_hi, v2 :: v_dual_mul_dx9_zero_f32 v7, vcc_hi, v3 ; encoding: [0x7f,0x70,0x18,0xcf,0x6b,0x00,0x02,0x00,0xff,0x03,0x00,0x07]
// W64-ERR: :[[@LINE-2]]:1: error: instruction requires wavesize=32

v_dual_subrev_f32 v255, exec_lo, v2 :: v_dual_mul_dx9_zero_f32 v7, ttmp15, v3
// GFX1250: v_dual_subrev_f32 v255, exec_lo, v2 :: v_dual_mul_dx9_zero_f32 v7, ttmp15, v3 ; encoding: [0x7e,0x70,0x18,0xcf,0x7b,0x00,0x02,0x00,0xff,0x03,0x00,0x07]
// W64-ERR: :[[@LINE-2]]:1: error: instruction requires wavesize=32

v_dual_subrev_f32 v255, m0, v2 :: v_dual_mul_dx9_zero_f32 v7, m0, v3
// GFX1250: v_dual_subrev_f32 v255, m0, v2 :: v_dual_mul_dx9_zero_f32 v7, m0, v3 ; encoding: [0x7d,0x70,0x18,0xcf,0x7d,0x00,0x02,0x00,0xff,0x03,0x00,0x07]
// W64-ERR: :[[@LINE-2]]:1: error: instruction requires wavesize=32

v_dual_subrev_f32 v255, vcc_hi, v2 :: v_dual_mul_dx9_zero_f32 v7, exec_lo, v3
// GFX1250: v_dual_subrev_f32 v255, vcc_hi, v2 :: v_dual_mul_dx9_zero_f32 v7, exec_lo, v3 ; encoding: [0x6b,0x70,0x18,0xcf,0x7e,0x00,0x02,0x00,0xff,0x03,0x00,0x07]
// W64-ERR: :[[@LINE-2]]:1: error: instruction requires wavesize=32

v_dual_subrev_f32 v255, vcc_lo, v2 :: v_dual_mul_dx9_zero_f32 v7, exec_hi, v3
// GFX1250: v_dual_subrev_f32 v255, vcc_lo, v2 :: v_dual_mul_dx9_zero_f32 v7, exec_hi, v3 ; encoding: [0x6a,0x70,0x18,0xcf,0x7f,0x00,0x02,0x00,0xff,0x03,0x00,0x07]
// W64-ERR: :[[@LINE-2]]:1: error: instruction requires wavesize=32

v_dual_subrev_f32 v255, src_scc, v2 :: v_dual_mul_dx9_zero_f32 v7, -1, v3
// GFX1250: v_dual_subrev_f32 v255, src_scc, v2 :: v_dual_mul_dx9_zero_f32 v7, -1, v3 ; encoding: [0xfd,0x70,0x18,0xcf,0xc1,0x00,0x02,0x00,0xff,0x03,0x00,0x07]
// W64-ERR: :[[@LINE-2]]:1: error: instruction requires wavesize=32

v_dual_subrev_f32 v255, 0.5, v3 :: v_dual_mul_dx9_zero_f32 v7, 0.5, v2
// GFX1250: v_dual_subrev_f32 v255, 0.5, v3 :: v_dual_mul_dx9_zero_f32 v7, 0.5, v2 ; encoding: [0xf0,0x70,0x18,0xcf,0xf0,0x00,0x03,0x00,0xff,0x02,0x00,0x07]
// W64-ERR: :[[@LINE-2]]:1: error: instruction requires wavesize=32

v_dual_subrev_f32 v255, -1, v4 :: v_dual_mul_dx9_zero_f32 v7, src_scc, v5
// GFX1250: v_dual_subrev_f32 v255, -1, v4 :: v_dual_mul_dx9_zero_f32 v7, src_scc, v5 ; encoding: [0xc1,0x70,0x18,0xcf,0xfd,0x00,0x04,0x00,0xff,0x05,0x00,0x07]
// W64-ERR: :[[@LINE-2]]:1: error: instruction requires wavesize=32

v_dual_subrev_f32 v255, v4, v2 :: v_dual_mul_f32 v7, v1, v3
// GFX1250: v_dual_subrev_f32 v255, v4, v2 :: v_dual_mul_f32 v7, v1, v3 ; encoding: [0x04,0x31,0x18,0xcf,0x01,0x01,0x02,0x00,0xff,0x03,0x00,0x07]
// W64-ERR: :[[@LINE-2]]:1: error: instruction requires wavesize=32

v_dual_subrev_f32 v255, v1, v2 :: v_dual_mul_f32 v7, v255, v3
// GFX1250: v_dual_subrev_f32 v255, v1, v2 :: v_dual_mul_f32 v7, v255, v3 ; encoding: [0x01,0x31,0x18,0xcf,0xff,0x01,0x02,0x00,0xff,0x03,0x00,0x07]
	;; [unrolled: 4-line block ×7, first 2 shown]
// W64-ERR: :[[@LINE-2]]:1: error: instruction requires wavesize=32

v_dual_subrev_f32 v255, ttmp15, v2 :: v_dual_mul_f32 v7, vcc_lo, v3
// GFX1250: v_dual_subrev_f32 v255, ttmp15, v2 :: v_dual_mul_f32 v7, vcc_lo, v3 ; encoding: [0x7b,0x30,0x18,0xcf,0x6a,0x00,0x02,0x00,0xff,0x03,0x00,0x07]
// W64-ERR: :[[@LINE-2]]:1: error: instruction requires wavesize=32

v_dual_subrev_f32 v255, exec_hi, v2 :: v_dual_mul_f32 v7, vcc_hi, v3
// GFX1250: v_dual_subrev_f32 v255, exec_hi, v2 :: v_dual_mul_f32 v7, vcc_hi, v3 ; encoding: [0x7f,0x30,0x18,0xcf,0x6b,0x00,0x02,0x00,0xff,0x03,0x00,0x07]
// W64-ERR: :[[@LINE-2]]:1: error: instruction requires wavesize=32

v_dual_subrev_f32 v255, exec_lo, v2 :: v_dual_mul_f32 v7, ttmp15, v3
// GFX1250: v_dual_subrev_f32 v255, exec_lo, v2 :: v_dual_mul_f32 v7, ttmp15, v3 ; encoding: [0x7e,0x30,0x18,0xcf,0x7b,0x00,0x02,0x00,0xff,0x03,0x00,0x07]
// W64-ERR: :[[@LINE-2]]:1: error: instruction requires wavesize=32

v_dual_subrev_f32 v255, m0, v2 :: v_dual_mul_f32 v7, m0, v3
// GFX1250: v_dual_subrev_f32 v255, m0, v2 :: v_dual_mul_f32 v7, m0, v3 ; encoding: [0x7d,0x30,0x18,0xcf,0x7d,0x00,0x02,0x00,0xff,0x03,0x00,0x07]
// W64-ERR: :[[@LINE-2]]:1: error: instruction requires wavesize=32

v_dual_subrev_f32 v255, vcc_hi, v2 :: v_dual_mul_f32 v7, exec_lo, v3
// GFX1250: v_dual_subrev_f32 v255, vcc_hi, v2 :: v_dual_mul_f32 v7, exec_lo, v3 ; encoding: [0x6b,0x30,0x18,0xcf,0x7e,0x00,0x02,0x00,0xff,0x03,0x00,0x07]
// W64-ERR: :[[@LINE-2]]:1: error: instruction requires wavesize=32

v_dual_subrev_f32 v255, vcc_lo, v2 :: v_dual_mul_f32 v7, exec_hi, v3
// GFX1250: v_dual_subrev_f32 v255, vcc_lo, v2 :: v_dual_mul_f32 v7, exec_hi, v3 ; encoding: [0x6a,0x30,0x18,0xcf,0x7f,0x00,0x02,0x00,0xff,0x03,0x00,0x07]
// W64-ERR: :[[@LINE-2]]:1: error: instruction requires wavesize=32

v_dual_subrev_f32 v255, src_scc, v2 :: v_dual_mul_f32 v7, -1, v3
// GFX1250: v_dual_subrev_f32 v255, src_scc, v2 :: v_dual_mul_f32 v7, -1, v3 ; encoding: [0xfd,0x30,0x18,0xcf,0xc1,0x00,0x02,0x00,0xff,0x03,0x00,0x07]
// W64-ERR: :[[@LINE-2]]:1: error: instruction requires wavesize=32

v_dual_subrev_f32 v255, 0.5, v3 :: v_dual_mul_f32 v7, 0.5, v2
// GFX1250: v_dual_subrev_f32 v255, 0.5, v3 :: v_dual_mul_f32 v7, 0.5, v2 ; encoding: [0xf0,0x30,0x18,0xcf,0xf0,0x00,0x03,0x00,0xff,0x02,0x00,0x07]
// W64-ERR: :[[@LINE-2]]:1: error: instruction requires wavesize=32

v_dual_subrev_f32 v255, -1, v4 :: v_dual_mul_f32 v7, src_scc, v5
// GFX1250: v_dual_subrev_f32 v255, -1, v4 :: v_dual_mul_f32 v7, src_scc, v5 ; encoding: [0xc1,0x30,0x18,0xcf,0xfd,0x00,0x04,0x00,0xff,0x05,0x00,0x07]
// W64-ERR: :[[@LINE-2]]:1: error: instruction requires wavesize=32

v_dual_subrev_f32 v255, v4, v2 :: v_dual_sub_f32 v7, v1, v3
// GFX1250: v_dual_subrev_f32 v255, v4, v2 :: v_dual_sub_f32 v7, v1, v3 ; encoding: [0x04,0x51,0x18,0xcf,0x01,0x01,0x02,0x00,0xff,0x03,0x00,0x07]
// W64-ERR: :[[@LINE-2]]:1: error: instruction requires wavesize=32

v_dual_subrev_f32 v255, v1, v2 :: v_dual_sub_f32 v7, v255, v3
// GFX1250: v_dual_subrev_f32 v255, v1, v2 :: v_dual_sub_f32 v7, v255, v3 ; encoding: [0x01,0x51,0x18,0xcf,0xff,0x01,0x02,0x00,0xff,0x03,0x00,0x07]
	;; [unrolled: 4-line block ×7, first 2 shown]
// W64-ERR: :[[@LINE-2]]:1: error: instruction requires wavesize=32

v_dual_subrev_f32 v255, ttmp15, v2 :: v_dual_sub_f32 v7, vcc_lo, v3
// GFX1250: v_dual_subrev_f32 v255, ttmp15, v2 :: v_dual_sub_f32 v7, vcc_lo, v3 ; encoding: [0x7b,0x50,0x18,0xcf,0x6a,0x00,0x02,0x00,0xff,0x03,0x00,0x07]
// W64-ERR: :[[@LINE-2]]:1: error: instruction requires wavesize=32

v_dual_subrev_f32 v255, exec_hi, v2 :: v_dual_sub_f32 v7, vcc_hi, v3
// GFX1250: v_dual_subrev_f32 v255, exec_hi, v2 :: v_dual_sub_f32 v7, vcc_hi, v3 ; encoding: [0x7f,0x50,0x18,0xcf,0x6b,0x00,0x02,0x00,0xff,0x03,0x00,0x07]
// W64-ERR: :[[@LINE-2]]:1: error: instruction requires wavesize=32

v_dual_subrev_f32 v255, exec_lo, v2 :: v_dual_sub_f32 v7, ttmp15, v3
// GFX1250: v_dual_subrev_f32 v255, exec_lo, v2 :: v_dual_sub_f32 v7, ttmp15, v3 ; encoding: [0x7e,0x50,0x18,0xcf,0x7b,0x00,0x02,0x00,0xff,0x03,0x00,0x07]
// W64-ERR: :[[@LINE-2]]:1: error: instruction requires wavesize=32

v_dual_subrev_f32 v255, m0, v2 :: v_dual_sub_f32 v7, m0, v3
// GFX1250: v_dual_subrev_f32 v255, m0, v2 :: v_dual_sub_f32 v7, m0, v3 ; encoding: [0x7d,0x50,0x18,0xcf,0x7d,0x00,0x02,0x00,0xff,0x03,0x00,0x07]
// W64-ERR: :[[@LINE-2]]:1: error: instruction requires wavesize=32

v_dual_subrev_f32 v255, vcc_hi, v2 :: v_dual_sub_f32 v7, exec_lo, v3
// GFX1250: v_dual_subrev_f32 v255, vcc_hi, v2 :: v_dual_sub_f32 v7, exec_lo, v3 ; encoding: [0x6b,0x50,0x18,0xcf,0x7e,0x00,0x02,0x00,0xff,0x03,0x00,0x07]
// W64-ERR: :[[@LINE-2]]:1: error: instruction requires wavesize=32

v_dual_subrev_f32 v255, vcc_lo, v2 :: v_dual_sub_f32 v7, exec_hi, v3
// GFX1250: v_dual_subrev_f32 v255, vcc_lo, v2 :: v_dual_sub_f32 v7, exec_hi, v3 ; encoding: [0x6a,0x50,0x18,0xcf,0x7f,0x00,0x02,0x00,0xff,0x03,0x00,0x07]
// W64-ERR: :[[@LINE-2]]:1: error: instruction requires wavesize=32

v_dual_subrev_f32 v255, src_scc, v2 :: v_dual_sub_f32 v7, -1, v3
// GFX1250: v_dual_subrev_f32 v255, src_scc, v2 :: v_dual_sub_f32 v7, -1, v3 ; encoding: [0xfd,0x50,0x18,0xcf,0xc1,0x00,0x02,0x00,0xff,0x03,0x00,0x07]
// W64-ERR: :[[@LINE-2]]:1: error: instruction requires wavesize=32

v_dual_subrev_f32 v255, 0.5, v3 :: v_dual_sub_f32 v7, 0.5, v2
// GFX1250: v_dual_subrev_f32 v255, 0.5, v3 :: v_dual_sub_f32 v7, 0.5, v2 ; encoding: [0xf0,0x50,0x18,0xcf,0xf0,0x00,0x03,0x00,0xff,0x02,0x00,0x07]
// W64-ERR: :[[@LINE-2]]:1: error: instruction requires wavesize=32

v_dual_subrev_f32 v255, -1, v4 :: v_dual_sub_f32 v7, src_scc, v5
// GFX1250: v_dual_subrev_f32 v255, -1, v4 :: v_dual_sub_f32 v7, src_scc, v5 ; encoding: [0xc1,0x50,0x18,0xcf,0xfd,0x00,0x04,0x00,0xff,0x05,0x00,0x07]
// W64-ERR: :[[@LINE-2]]:1: error: instruction requires wavesize=32

v_dual_subrev_f32 v255, v4, v2 :: v_dual_subrev_f32 v7, v1, v3
// GFX1250: v_dual_subrev_f32 v255, v4, v2 :: v_dual_subrev_f32 v7, v1, v3 ; encoding: [0x04,0x61,0x18,0xcf,0x01,0x01,0x02,0x00,0xff,0x03,0x00,0x07]
// W64-ERR: :[[@LINE-2]]:1: error: instruction requires wavesize=32

v_dual_subrev_f32 v255, v1, v2 :: v_dual_subrev_f32 v7, v255, v3
// GFX1250: v_dual_subrev_f32 v255, v1, v2 :: v_dual_subrev_f32 v7, v255, v3 ; encoding: [0x01,0x61,0x18,0xcf,0xff,0x01,0x02,0x00,0xff,0x03,0x00,0x07]
	;; [unrolled: 4-line block ×7, first 2 shown]
// W64-ERR: :[[@LINE-2]]:1: error: instruction requires wavesize=32

v_dual_subrev_f32 v255, ttmp15, v2 :: v_dual_subrev_f32 v7, vcc_lo, v3
// GFX1250: v_dual_subrev_f32 v255, ttmp15, v2 :: v_dual_subrev_f32 v7, vcc_lo, v3 ; encoding: [0x7b,0x60,0x18,0xcf,0x6a,0x00,0x02,0x00,0xff,0x03,0x00,0x07]
// W64-ERR: :[[@LINE-2]]:1: error: instruction requires wavesize=32

v_dual_subrev_f32 v255, exec_hi, v2 :: v_dual_subrev_f32 v7, vcc_hi, v3
// GFX1250: v_dual_subrev_f32 v255, exec_hi, v2 :: v_dual_subrev_f32 v7, vcc_hi, v3 ; encoding: [0x7f,0x60,0x18,0xcf,0x6b,0x00,0x02,0x00,0xff,0x03,0x00,0x07]
// W64-ERR: :[[@LINE-2]]:1: error: instruction requires wavesize=32

v_dual_subrev_f32 v255, exec_lo, v2 :: v_dual_subrev_f32 v7, ttmp15, v3
// GFX1250: v_dual_subrev_f32 v255, exec_lo, v2 :: v_dual_subrev_f32 v7, ttmp15, v3 ; encoding: [0x7e,0x60,0x18,0xcf,0x7b,0x00,0x02,0x00,0xff,0x03,0x00,0x07]
// W64-ERR: :[[@LINE-2]]:1: error: instruction requires wavesize=32

v_dual_subrev_f32 v255, m0, v2 :: v_dual_subrev_f32 v7, m0, v3
// GFX1250: v_dual_subrev_f32 v255, m0, v2 :: v_dual_subrev_f32 v7, m0, v3 ; encoding: [0x7d,0x60,0x18,0xcf,0x7d,0x00,0x02,0x00,0xff,0x03,0x00,0x07]
// W64-ERR: :[[@LINE-2]]:1: error: instruction requires wavesize=32

v_dual_subrev_f32 v255, vcc_hi, v2 :: v_dual_subrev_f32 v7, exec_lo, v3
// GFX1250: v_dual_subrev_f32 v255, vcc_hi, v2 :: v_dual_subrev_f32 v7, exec_lo, v3 ; encoding: [0x6b,0x60,0x18,0xcf,0x7e,0x00,0x02,0x00,0xff,0x03,0x00,0x07]
// W64-ERR: :[[@LINE-2]]:1: error: instruction requires wavesize=32

v_dual_subrev_f32 v255, vcc_lo, v2 :: v_dual_subrev_f32 v7, exec_hi, v3
// GFX1250: v_dual_subrev_f32 v255, vcc_lo, v2 :: v_dual_subrev_f32 v7, exec_hi, v3 ; encoding: [0x6a,0x60,0x18,0xcf,0x7f,0x00,0x02,0x00,0xff,0x03,0x00,0x07]
// W64-ERR: :[[@LINE-2]]:1: error: instruction requires wavesize=32

v_dual_subrev_f32 v255, src_scc, v2 :: v_dual_subrev_f32 v7, -1, v3
// GFX1250: v_dual_subrev_f32 v255, src_scc, v2 :: v_dual_subrev_f32 v7, -1, v3 ; encoding: [0xfd,0x60,0x18,0xcf,0xc1,0x00,0x02,0x00,0xff,0x03,0x00,0x07]
// W64-ERR: :[[@LINE-2]]:1: error: instruction requires wavesize=32

v_dual_subrev_f32 v255, 0.5, v3 :: v_dual_subrev_f32 v7, 0.5, v2
// GFX1250: v_dual_subrev_f32 v255, 0.5, v3 :: v_dual_subrev_f32 v7, 0.5, v2 ; encoding: [0xf0,0x60,0x18,0xcf,0xf0,0x00,0x03,0x00,0xff,0x02,0x00,0x07]
// W64-ERR: :[[@LINE-2]]:1: error: instruction requires wavesize=32

v_dual_subrev_f32 v255, -1, v4 :: v_dual_subrev_f32 v7, src_scc, v5
// GFX1250: v_dual_subrev_f32 v255, -1, v4 :: v_dual_subrev_f32 v7, src_scc, v5 ; encoding: [0xc1,0x60,0x18,0xcf,0xfd,0x00,0x04,0x00,0xff,0x05,0x00,0x07]
// W64-ERR: :[[@LINE-2]]:1: error: instruction requires wavesize=32

v_dual_subrev_f32 v255, v4, v2 :: v_dual_fma_f32 v7, v1, v3, v4
// GFX1250: v_dual_subrev_f32 v255, v4, v2 :: v_dual_fma_f32 v7, v1, v3, v4 ; encoding: [0x04,0x31,0x19,0xcf,0x01,0x01,0x02,0x00,0xff,0x03,0x04,0x07]
// W64-ERR: :[[@LINE-2]]:1: error: instruction requires wavesize=32

v_dual_subrev_f32 v255, v4, v2 :: v_dual_bitop2_b32 v7, v1, v3 bitop3:0x83
// GFX1250: v_dual_subrev_f32 v255, v4, v2 :: v_dual_bitop2_b32 v7, v1, v3 bitop3:0x83 ; encoding: [0x04,0x21,0x19,0xcf,0x01,0x01,0x02,0x00,0xff,0x03,0x83,0x07]
// W64-ERR: :[[@LINE-2]]:1: error: instruction requires wavesize=32

v_dual_add_f32 v255, v4, v2 :: v_dual_max_i32 v7, v1, v3
// GFX1250: v_dual_add_f32 v255, v4, v2 :: v_dual_max_i32 v7, v1, v3 ; encoding: [0x04,0x71,0x11,0xcf,0x01,0x01,0x02,0x00,0xff,0x03,0x00,0x07]
// W64-ERR: :[[@LINE-2]]:1: error: instruction requires wavesize=32

v_dual_add_f32 v255, v1, v2 :: v_dual_max_i32 v7, v255, v3
// GFX1250: v_dual_add_f32 v255, v1, v2 :: v_dual_max_i32 v7, v255, v3 ; encoding: [0x01,0x71,0x11,0xcf,0xff,0x01,0x02,0x00,0xff,0x03,0x00,0x07]
	;; [unrolled: 4-line block ×7, first 2 shown]
// W64-ERR: :[[@LINE-2]]:1: error: instruction requires wavesize=32

v_dual_add_f32 v255, ttmp15, v2 :: v_dual_max_i32 v7, vcc_lo, v3
// GFX1250: v_dual_add_f32 v255, ttmp15, v2 :: v_dual_max_i32 v7, vcc_lo, v3 ; encoding: [0x7b,0x70,0x11,0xcf,0x6a,0x00,0x02,0x00,0xff,0x03,0x00,0x07]
// W64-ERR: :[[@LINE-2]]:1: error: instruction requires wavesize=32

v_dual_add_f32 v255, exec_hi, v2 :: v_dual_max_i32 v7, vcc_hi, v3
// GFX1250: v_dual_add_f32 v255, exec_hi, v2 :: v_dual_max_i32 v7, vcc_hi, v3 ; encoding: [0x7f,0x70,0x11,0xcf,0x6b,0x00,0x02,0x00,0xff,0x03,0x00,0x07]
// W64-ERR: :[[@LINE-2]]:1: error: instruction requires wavesize=32

v_dual_add_f32 v255, exec_lo, v2 :: v_dual_max_i32 v7, ttmp15, v3
// GFX1250: v_dual_add_f32 v255, exec_lo, v2 :: v_dual_max_i32 v7, ttmp15, v3 ; encoding: [0x7e,0x70,0x11,0xcf,0x7b,0x00,0x02,0x00,0xff,0x03,0x00,0x07]
// W64-ERR: :[[@LINE-2]]:1: error: instruction requires wavesize=32

v_dual_add_f32 v255, m0, v2 :: v_dual_max_i32 v7, m0, v3
// GFX1250: v_dual_add_f32 v255, m0, v2 :: v_dual_max_i32 v7, m0, v3 ; encoding: [0x7d,0x70,0x11,0xcf,0x7d,0x00,0x02,0x00,0xff,0x03,0x00,0x07]
// W64-ERR: :[[@LINE-2]]:1: error: instruction requires wavesize=32

v_dual_add_f32 v255, vcc_hi, v2 :: v_dual_max_i32 v7, exec_lo, v3
// GFX1250: v_dual_add_f32 v255, vcc_hi, v2 :: v_dual_max_i32 v7, exec_lo, v3 ; encoding: [0x6b,0x70,0x11,0xcf,0x7e,0x00,0x02,0x00,0xff,0x03,0x00,0x07]
// W64-ERR: :[[@LINE-2]]:1: error: instruction requires wavesize=32

v_dual_add_f32 v255, vcc_lo, v2 :: v_dual_max_i32 v7, exec_hi, v3
// GFX1250: v_dual_add_f32 v255, vcc_lo, v2 :: v_dual_max_i32 v7, exec_hi, v3 ; encoding: [0x6a,0x70,0x11,0xcf,0x7f,0x00,0x02,0x00,0xff,0x03,0x00,0x07]
// W64-ERR: :[[@LINE-2]]:1: error: instruction requires wavesize=32

v_dual_add_f32 v255, src_scc, v2 :: v_dual_max_i32 v7, -1, v3
// GFX1250: v_dual_add_f32 v255, src_scc, v2 :: v_dual_max_i32 v7, -1, v3 ; encoding: [0xfd,0x70,0x11,0xcf,0xc1,0x00,0x02,0x00,0xff,0x03,0x00,0x07]
// W64-ERR: :[[@LINE-2]]:1: error: instruction requires wavesize=32

v_dual_add_f32 v255, 0.5, v3 :: v_dual_max_i32 v7, 0.5, v2
// GFX1250: v_dual_add_f32 v255, 0.5, v3 :: v_dual_max_i32 v7, 0.5, v2 ; encoding: [0xf0,0x70,0x11,0xcf,0xf0,0x00,0x03,0x00,0xff,0x02,0x00,0x07]
// W64-ERR: :[[@LINE-2]]:1: error: instruction requires wavesize=32

v_dual_add_f32 v255, -1, v4 :: v_dual_max_i32 v7, src_scc, v5
// GFX1250: v_dual_add_f32 v255, -1, v4 :: v_dual_max_i32 v7, src_scc, v5 ; encoding: [0xc1,0x70,0x11,0xcf,0xfd,0x00,0x04,0x00,0xff,0x05,0x00,0x07]
// W64-ERR: :[[@LINE-2]]:1: error: instruction requires wavesize=32

v_dual_cndmask_b32 v255, v4, v2, vcc_lo :: v_dual_max_i32 v7, v1, v3
// GFX1250: v_dual_cndmask_b32 v255, v4, v2, vcc_lo :: v_dual_max_i32 v7, v1, v3 ; encoding: [0x04,0x71,0x25,0xcf,0x01,0x01,0x02,0x6a,0xff,0x03,0x00,0x07]
// W64-ERR: :[[@LINE-2]]:1: error: instruction requires wavesize=32

v_dual_cndmask_b32 v255, v1, v2, vcc_lo :: v_dual_max_i32 v7, v255, v3
// GFX1250: v_dual_cndmask_b32 v255, v1, v2, vcc_lo :: v_dual_max_i32 v7, v255, v3 ; encoding: [0x01,0x71,0x25,0xcf,0xff,0x01,0x02,0x6a,0xff,0x03,0x00,0x07]
	;; [unrolled: 4-line block ×7, first 2 shown]
// W64-ERR: :[[@LINE-2]]:1: error: instruction requires wavesize=32

v_dual_cndmask_b32 v255, ttmp15, v2, vcc_lo :: v_dual_max_i32 v7, ttmp15, v3
// GFX1250: v_dual_cndmask_b32 v255, ttmp15, v2, vcc_lo :: v_dual_max_i32 v7, ttmp15, v3 ; encoding: [0x7b,0x70,0x25,0xcf,0x7b,0x00,0x02,0x6a,0xff,0x03,0x00,0x07]
// W64-ERR: :[[@LINE-2]]:1: error: instruction requires wavesize=32

v_dual_cndmask_b32 v255, exec_hi, v2, vcc_lo :: v_dual_max_i32 v7, exec_hi, v3
// GFX1250: v_dual_cndmask_b32 v255, exec_hi, v2, vcc_lo :: v_dual_max_i32 v7, exec_hi, v3 ; encoding: [0x7f,0x70,0x25,0xcf,0x7f,0x00,0x02,0x6a,0xff,0x03,0x00,0x07]
// W64-ERR: :[[@LINE-2]]:1: error: instruction requires wavesize=32

v_dual_cndmask_b32 v255, exec_lo, v2, vcc_lo :: v_dual_max_i32 v7, exec_lo, v3
// GFX1250: v_dual_cndmask_b32 v255, exec_lo, v2, vcc_lo :: v_dual_max_i32 v7, exec_lo, v3 ; encoding: [0x7e,0x70,0x25,0xcf,0x7e,0x00,0x02,0x6a,0xff,0x03,0x00,0x07]
// W64-ERR: :[[@LINE-2]]:1: error: instruction requires wavesize=32

v_dual_cndmask_b32 v255, m0, v2, vcc_lo :: v_dual_max_i32 v7, m0, v3
// GFX1250: v_dual_cndmask_b32 v255, m0, v2, vcc_lo :: v_dual_max_i32 v7, m0, v3 ; encoding: [0x7d,0x70,0x25,0xcf,0x7d,0x00,0x02,0x6a,0xff,0x03,0x00,0x07]
// W64-ERR: :[[@LINE-2]]:1: error: instruction requires wavesize=32

v_dual_cndmask_b32 v255, vcc_hi, v2, vcc_lo :: v_dual_max_i32 v7, vcc_hi, v3
// GFX1250: v_dual_cndmask_b32 v255, vcc_hi, v2, vcc_lo :: v_dual_max_i32 v7, vcc_hi, v3 ; encoding: [0x6b,0x70,0x25,0xcf,0x6b,0x00,0x02,0x6a,0xff,0x03,0x00,0x07]
// W64-ERR: :[[@LINE-2]]:1: error: instruction requires wavesize=32

v_dual_cndmask_b32 v255, vcc_lo, v2, vcc_lo :: v_dual_max_i32 v7, vcc_lo, v3
// GFX1250: v_dual_cndmask_b32 v255, vcc_lo, v2, vcc_lo :: v_dual_max_i32 v7, vcc_lo, v3 ; encoding: [0x6a,0x70,0x25,0xcf,0x6a,0x00,0x02,0x6a,0xff,0x03,0x00,0x07]
// W64-ERR: :[[@LINE-2]]:1: error: instruction requires wavesize=32

v_dual_cndmask_b32 v255, src_scc, v2, vcc_lo :: v_dual_max_i32 v7, -1, v3
// GFX1250: v_dual_cndmask_b32 v255, src_scc, v2, vcc_lo :: v_dual_max_i32 v7, -1, v3 ; encoding: [0xfd,0x70,0x25,0xcf,0xc1,0x00,0x02,0x6a,0xff,0x03,0x00,0x07]
// W64-ERR: :[[@LINE-2]]:1: error: instruction requires wavesize=32

v_dual_cndmask_b32 v255, 0.5, v3, vcc_lo :: v_dual_max_i32 v7, 0.5, v2
// GFX1250: v_dual_cndmask_b32 v255, 0.5, v3, vcc_lo :: v_dual_max_i32 v7, 0.5, v2 ; encoding: [0xf0,0x70,0x25,0xcf,0xf0,0x00,0x03,0x6a,0xff,0x02,0x00,0x07]
// W64-ERR: :[[@LINE-2]]:1: error: instruction requires wavesize=32

v_dual_cndmask_b32 v255, -1, v4, vcc_lo :: v_dual_max_i32 v7, src_scc, v5
// GFX1250: v_dual_cndmask_b32 v255, -1, v4, vcc_lo :: v_dual_max_i32 v7, src_scc, v5 ; encoding: [0xc1,0x70,0x25,0xcf,0xfd,0x00,0x04,0x6a,0xff,0x05,0x00,0x07]
// W64-ERR: :[[@LINE-2]]:1: error: instruction requires wavesize=32

v_dual_fmac_f32 v255, v4, v2 :: v_dual_max_i32 v7, v1, v3
// GFX1250: v_dual_fmac_f32 v255, v4, v2 :: v_dual_max_i32 v7, v1, v3 ; encoding: [0x04,0x71,0x01,0xcf,0x01,0x01,0x02,0x00,0xff,0x03,0x00,0x07]
// W64-ERR: :[[@LINE-2]]:1: error: instruction requires wavesize=32

v_dual_fmac_f32 v255, v1, v2 :: v_dual_max_i32 v7, v255, v3
// GFX1250: v_dual_fmac_f32 v255, v1, v2 :: v_dual_max_i32 v7, v255, v3 ; encoding: [0x01,0x71,0x01,0xcf,0xff,0x01,0x02,0x00,0xff,0x03,0x00,0x07]
	;; [unrolled: 4-line block ×7, first 2 shown]
// W64-ERR: :[[@LINE-2]]:1: error: instruction requires wavesize=32

v_dual_fmac_f32 v255, ttmp15, v2 :: v_dual_max_i32 v7, vcc_lo, v3
// GFX1250: v_dual_fmac_f32 v255, ttmp15, v2 :: v_dual_max_i32 v7, vcc_lo, v3 ; encoding: [0x7b,0x70,0x01,0xcf,0x6a,0x00,0x02,0x00,0xff,0x03,0x00,0x07]
// W64-ERR: :[[@LINE-2]]:1: error: instruction requires wavesize=32

v_dual_fmac_f32 v255, exec_hi, v2 :: v_dual_max_i32 v7, vcc_hi, v3
// GFX1250: v_dual_fmac_f32 v255, exec_hi, v2 :: v_dual_max_i32 v7, vcc_hi, v3 ; encoding: [0x7f,0x70,0x01,0xcf,0x6b,0x00,0x02,0x00,0xff,0x03,0x00,0x07]
// W64-ERR: :[[@LINE-2]]:1: error: instruction requires wavesize=32

v_dual_fmac_f32 v255, exec_lo, v2 :: v_dual_max_i32 v7, ttmp15, v3
// GFX1250: v_dual_fmac_f32 v255, exec_lo, v2 :: v_dual_max_i32 v7, ttmp15, v3 ; encoding: [0x7e,0x70,0x01,0xcf,0x7b,0x00,0x02,0x00,0xff,0x03,0x00,0x07]
// W64-ERR: :[[@LINE-2]]:1: error: instruction requires wavesize=32

v_dual_fmac_f32 v255, m0, v2 :: v_dual_max_i32 v7, m0, v3
// GFX1250: v_dual_fmac_f32 v255, m0, v2 :: v_dual_max_i32 v7, m0, v3 ; encoding: [0x7d,0x70,0x01,0xcf,0x7d,0x00,0x02,0x00,0xff,0x03,0x00,0x07]
// W64-ERR: :[[@LINE-2]]:1: error: instruction requires wavesize=32

v_dual_fmac_f32 v255, vcc_hi, v2 :: v_dual_max_i32 v7, exec_lo, v3
// GFX1250: v_dual_fmac_f32 v255, vcc_hi, v2 :: v_dual_max_i32 v7, exec_lo, v3 ; encoding: [0x6b,0x70,0x01,0xcf,0x7e,0x00,0x02,0x00,0xff,0x03,0x00,0x07]
// W64-ERR: :[[@LINE-2]]:1: error: instruction requires wavesize=32

v_dual_fmac_f32 v255, vcc_lo, v2 :: v_dual_max_i32 v7, exec_hi, v3
// GFX1250: v_dual_fmac_f32 v255, vcc_lo, v2 :: v_dual_max_i32 v7, exec_hi, v3 ; encoding: [0x6a,0x70,0x01,0xcf,0x7f,0x00,0x02,0x00,0xff,0x03,0x00,0x07]
// W64-ERR: :[[@LINE-2]]:1: error: instruction requires wavesize=32

v_dual_fmac_f32 v255, src_scc, v2 :: v_dual_max_i32 v7, -1, v3
// GFX1250: v_dual_fmac_f32 v255, src_scc, v2 :: v_dual_max_i32 v7, -1, v3 ; encoding: [0xfd,0x70,0x01,0xcf,0xc1,0x00,0x02,0x00,0xff,0x03,0x00,0x07]
// W64-ERR: :[[@LINE-2]]:1: error: instruction requires wavesize=32

v_dual_fmac_f32 v255, 0.5, v3 :: v_dual_max_i32 v7, 0.5, v2
// GFX1250: v_dual_fmac_f32 v255, 0.5, v3 :: v_dual_max_i32 v7, 0.5, v2 ; encoding: [0xf0,0x70,0x01,0xcf,0xf0,0x00,0x03,0x00,0xff,0x02,0x00,0x07]
// W64-ERR: :[[@LINE-2]]:1: error: instruction requires wavesize=32

v_dual_fmac_f32 v255, -1, v4 :: v_dual_max_i32 v7, src_scc, v5
// GFX1250: v_dual_fmac_f32 v255, -1, v4 :: v_dual_max_i32 v7, src_scc, v5 ; encoding: [0xc1,0x70,0x01,0xcf,0xfd,0x00,0x04,0x00,0xff,0x05,0x00,0x07]
// W64-ERR: :[[@LINE-2]]:1: error: instruction requires wavesize=32

v_dual_max_num_f32 v255, v4, v2 :: v_dual_max_i32 v7, v1, v3
// GFX1250: v_dual_max_num_f32 v255, v4, v2 :: v_dual_max_i32 v7, v1, v3 ; encoding: [0x04,0x71,0x29,0xcf,0x01,0x01,0x02,0x00,0xff,0x03,0x00,0x07]
// W64-ERR: :[[@LINE-2]]:1: error: instruction requires wavesize=32

v_dual_max_num_f32 v255, v1, v2 :: v_dual_max_i32 v7, v255, v3
// GFX1250: v_dual_max_num_f32 v255, v1, v2 :: v_dual_max_i32 v7, v255, v3 ; encoding: [0x01,0x71,0x29,0xcf,0xff,0x01,0x02,0x00,0xff,0x03,0x00,0x07]
	;; [unrolled: 4-line block ×7, first 2 shown]
// W64-ERR: :[[@LINE-2]]:1: error: instruction requires wavesize=32

v_dual_max_num_f32 v255, ttmp15, v2 :: v_dual_max_i32 v7, vcc_lo, v3
// GFX1250: v_dual_max_num_f32 v255, ttmp15, v2 :: v_dual_max_i32 v7, vcc_lo, v3 ; encoding: [0x7b,0x70,0x29,0xcf,0x6a,0x00,0x02,0x00,0xff,0x03,0x00,0x07]
// W64-ERR: :[[@LINE-2]]:1: error: instruction requires wavesize=32

v_dual_max_num_f32 v255, exec_hi, v2 :: v_dual_max_i32 v7, vcc_hi, v3
// GFX1250: v_dual_max_num_f32 v255, exec_hi, v2 :: v_dual_max_i32 v7, vcc_hi, v3 ; encoding: [0x7f,0x70,0x29,0xcf,0x6b,0x00,0x02,0x00,0xff,0x03,0x00,0x07]
// W64-ERR: :[[@LINE-2]]:1: error: instruction requires wavesize=32

v_dual_max_num_f32 v255, exec_lo, v2 :: v_dual_max_i32 v7, ttmp15, v3
// GFX1250: v_dual_max_num_f32 v255, exec_lo, v2 :: v_dual_max_i32 v7, ttmp15, v3 ; encoding: [0x7e,0x70,0x29,0xcf,0x7b,0x00,0x02,0x00,0xff,0x03,0x00,0x07]
// W64-ERR: :[[@LINE-2]]:1: error: instruction requires wavesize=32

v_dual_max_num_f32 v255, m0, v2 :: v_dual_max_i32 v7, m0, v3
// GFX1250: v_dual_max_num_f32 v255, m0, v2 :: v_dual_max_i32 v7, m0, v3 ; encoding: [0x7d,0x70,0x29,0xcf,0x7d,0x00,0x02,0x00,0xff,0x03,0x00,0x07]
// W64-ERR: :[[@LINE-2]]:1: error: instruction requires wavesize=32

v_dual_max_num_f32 v255, vcc_hi, v2 :: v_dual_max_i32 v7, exec_lo, v3
// GFX1250: v_dual_max_num_f32 v255, vcc_hi, v2 :: v_dual_max_i32 v7, exec_lo, v3 ; encoding: [0x6b,0x70,0x29,0xcf,0x7e,0x00,0x02,0x00,0xff,0x03,0x00,0x07]
// W64-ERR: :[[@LINE-2]]:1: error: instruction requires wavesize=32

v_dual_max_num_f32 v255, vcc_lo, v2 :: v_dual_max_i32 v7, exec_hi, v3
// GFX1250: v_dual_max_num_f32 v255, vcc_lo, v2 :: v_dual_max_i32 v7, exec_hi, v3 ; encoding: [0x6a,0x70,0x29,0xcf,0x7f,0x00,0x02,0x00,0xff,0x03,0x00,0x07]
// W64-ERR: :[[@LINE-2]]:1: error: instruction requires wavesize=32

v_dual_max_num_f32 v255, src_scc, v2 :: v_dual_max_i32 v7, -1, v3
// GFX1250: v_dual_max_num_f32 v255, src_scc, v2 :: v_dual_max_i32 v7, -1, v3 ; encoding: [0xfd,0x70,0x29,0xcf,0xc1,0x00,0x02,0x00,0xff,0x03,0x00,0x07]
// W64-ERR: :[[@LINE-2]]:1: error: instruction requires wavesize=32

v_dual_max_num_f32 v255, 0.5, v3 :: v_dual_max_i32 v7, 0.5, v2
// GFX1250: v_dual_max_num_f32 v255, 0.5, v3 :: v_dual_max_i32 v7, 0.5, v2 ; encoding: [0xf0,0x70,0x29,0xcf,0xf0,0x00,0x03,0x00,0xff,0x02,0x00,0x07]
// W64-ERR: :[[@LINE-2]]:1: error: instruction requires wavesize=32

v_dual_max_num_f32 v255, -1, v4 :: v_dual_max_i32 v7, src_scc, v5
// GFX1250: v_dual_max_num_f32 v255, -1, v4 :: v_dual_max_i32 v7, src_scc, v5 ; encoding: [0xc1,0x70,0x29,0xcf,0xfd,0x00,0x04,0x00,0xff,0x05,0x00,0x07]
// W64-ERR: :[[@LINE-2]]:1: error: instruction requires wavesize=32

v_dual_min_num_f32 v255, v4, v2 :: v_dual_max_i32 v7, v1, v3
// GFX1250: v_dual_min_num_f32 v255, v4, v2 :: v_dual_max_i32 v7, v1, v3 ; encoding: [0x04,0x71,0x2d,0xcf,0x01,0x01,0x02,0x00,0xff,0x03,0x00,0x07]
// W64-ERR: :[[@LINE-2]]:1: error: instruction requires wavesize=32

v_dual_min_num_f32 v255, v1, v2 :: v_dual_max_i32 v7, v255, v3
// GFX1250: v_dual_min_num_f32 v255, v1, v2 :: v_dual_max_i32 v7, v255, v3 ; encoding: [0x01,0x71,0x2d,0xcf,0xff,0x01,0x02,0x00,0xff,0x03,0x00,0x07]
	;; [unrolled: 4-line block ×7, first 2 shown]
// W64-ERR: :[[@LINE-2]]:1: error: instruction requires wavesize=32

v_dual_min_num_f32 v255, ttmp15, v2 :: v_dual_max_i32 v7, vcc_lo, v3
// GFX1250: v_dual_min_num_f32 v255, ttmp15, v2 :: v_dual_max_i32 v7, vcc_lo, v3 ; encoding: [0x7b,0x70,0x2d,0xcf,0x6a,0x00,0x02,0x00,0xff,0x03,0x00,0x07]
// W64-ERR: :[[@LINE-2]]:1: error: instruction requires wavesize=32

v_dual_min_num_f32 v255, exec_hi, v2 :: v_dual_max_i32 v7, vcc_hi, v3
// GFX1250: v_dual_min_num_f32 v255, exec_hi, v2 :: v_dual_max_i32 v7, vcc_hi, v3 ; encoding: [0x7f,0x70,0x2d,0xcf,0x6b,0x00,0x02,0x00,0xff,0x03,0x00,0x07]
// W64-ERR: :[[@LINE-2]]:1: error: instruction requires wavesize=32

v_dual_min_num_f32 v255, exec_lo, v2 :: v_dual_max_i32 v7, ttmp15, v3
// GFX1250: v_dual_min_num_f32 v255, exec_lo, v2 :: v_dual_max_i32 v7, ttmp15, v3 ; encoding: [0x7e,0x70,0x2d,0xcf,0x7b,0x00,0x02,0x00,0xff,0x03,0x00,0x07]
// W64-ERR: :[[@LINE-2]]:1: error: instruction requires wavesize=32

v_dual_min_num_f32 v255, m0, v2 :: v_dual_max_i32 v7, m0, v3
// GFX1250: v_dual_min_num_f32 v255, m0, v2 :: v_dual_max_i32 v7, m0, v3 ; encoding: [0x7d,0x70,0x2d,0xcf,0x7d,0x00,0x02,0x00,0xff,0x03,0x00,0x07]
// W64-ERR: :[[@LINE-2]]:1: error: instruction requires wavesize=32

v_dual_min_num_f32 v255, vcc_hi, v2 :: v_dual_max_i32 v7, exec_lo, v3
// GFX1250: v_dual_min_num_f32 v255, vcc_hi, v2 :: v_dual_max_i32 v7, exec_lo, v3 ; encoding: [0x6b,0x70,0x2d,0xcf,0x7e,0x00,0x02,0x00,0xff,0x03,0x00,0x07]
// W64-ERR: :[[@LINE-2]]:1: error: instruction requires wavesize=32

v_dual_min_num_f32 v255, vcc_lo, v2 :: v_dual_max_i32 v7, exec_hi, v3
// GFX1250: v_dual_min_num_f32 v255, vcc_lo, v2 :: v_dual_max_i32 v7, exec_hi, v3 ; encoding: [0x6a,0x70,0x2d,0xcf,0x7f,0x00,0x02,0x00,0xff,0x03,0x00,0x07]
// W64-ERR: :[[@LINE-2]]:1: error: instruction requires wavesize=32

v_dual_min_num_f32 v255, src_scc, v2 :: v_dual_max_i32 v7, -1, v3
// GFX1250: v_dual_min_num_f32 v255, src_scc, v2 :: v_dual_max_i32 v7, -1, v3 ; encoding: [0xfd,0x70,0x2d,0xcf,0xc1,0x00,0x02,0x00,0xff,0x03,0x00,0x07]
// W64-ERR: :[[@LINE-2]]:1: error: instruction requires wavesize=32

v_dual_min_num_f32 v255, 0.5, v3 :: v_dual_max_i32 v7, 0.5, v2
// GFX1250: v_dual_min_num_f32 v255, 0.5, v3 :: v_dual_max_i32 v7, 0.5, v2 ; encoding: [0xf0,0x70,0x2d,0xcf,0xf0,0x00,0x03,0x00,0xff,0x02,0x00,0x07]
// W64-ERR: :[[@LINE-2]]:1: error: instruction requires wavesize=32

v_dual_min_num_f32 v255, -1, v4 :: v_dual_max_i32 v7, src_scc, v5
// GFX1250: v_dual_min_num_f32 v255, -1, v4 :: v_dual_max_i32 v7, src_scc, v5 ; encoding: [0xc1,0x70,0x2d,0xcf,0xfd,0x00,0x04,0x00,0xff,0x05,0x00,0x07]
// W64-ERR: :[[@LINE-2]]:1: error: instruction requires wavesize=32

v_dual_mov_b32 v255, v4 :: v_dual_max_i32 v7, v1, v255
// GFX1250: v_dual_mov_b32 v255, v4 :: v_dual_max_i32 v7, v1, v255 ; encoding: [0x04,0x71,0x21,0xcf,0x01,0x01,0x00,0x00,0xff,0xff,0x00,0x07]
// W64-ERR: :[[@LINE-2]]:1: error: instruction requires wavesize=32

v_dual_mov_b32 v255, v1 :: v_dual_max_i32 v7, v255, v255
// GFX1250: v_dual_mov_b32 v255, v1 :: v_dual_max_i32 v7, v255, v255 ; encoding: [0x01,0x71,0x21,0xcf,0xff,0x01,0x00,0x00,0xff,0xff,0x00,0x07]
	;; [unrolled: 4-line block ×7, first 2 shown]
// W64-ERR: :[[@LINE-2]]:1: error: instruction requires wavesize=32

v_dual_mov_b32 v255, ttmp15 :: v_dual_max_i32 v7, vcc_lo, v255
// GFX1250: v_dual_mov_b32 v255, ttmp15 :: v_dual_max_i32 v7, vcc_lo, v255 ; encoding: [0x7b,0x70,0x21,0xcf,0x6a,0x00,0x00,0x00,0xff,0xff,0x00,0x07]
// W64-ERR: :[[@LINE-2]]:1: error: instruction requires wavesize=32

v_dual_mov_b32 v255, exec_hi :: v_dual_max_i32 v7, vcc_hi, v255
// GFX1250: v_dual_mov_b32 v255, exec_hi :: v_dual_max_i32 v7, vcc_hi, v255 ; encoding: [0x7f,0x70,0x21,0xcf,0x6b,0x00,0x00,0x00,0xff,0xff,0x00,0x07]
// W64-ERR: :[[@LINE-2]]:1: error: instruction requires wavesize=32

v_dual_mov_b32 v255, exec_lo :: v_dual_max_i32 v7, ttmp15, v255
// GFX1250: v_dual_mov_b32 v255, exec_lo :: v_dual_max_i32 v7, ttmp15, v255 ; encoding: [0x7e,0x70,0x21,0xcf,0x7b,0x00,0x00,0x00,0xff,0xff,0x00,0x07]
// W64-ERR: :[[@LINE-2]]:1: error: instruction requires wavesize=32

v_dual_mov_b32 v255, m0 :: v_dual_max_i32 v7, m0, v255
// GFX1250: v_dual_mov_b32 v255, m0 :: v_dual_max_i32 v7, m0, v255 ; encoding: [0x7d,0x70,0x21,0xcf,0x7d,0x00,0x00,0x00,0xff,0xff,0x00,0x07]
// W64-ERR: :[[@LINE-2]]:1: error: instruction requires wavesize=32

v_dual_mov_b32 v255, vcc_hi :: v_dual_max_i32 v7, exec_lo, v255
// GFX1250: v_dual_mov_b32 v255, vcc_hi :: v_dual_max_i32 v7, exec_lo, v255 ; encoding: [0x6b,0x70,0x21,0xcf,0x7e,0x00,0x00,0x00,0xff,0xff,0x00,0x07]
// W64-ERR: :[[@LINE-2]]:1: error: instruction requires wavesize=32

v_dual_mov_b32 v255, vcc_lo :: v_dual_max_i32 v7, exec_hi, v255
// GFX1250: v_dual_mov_b32 v255, vcc_lo :: v_dual_max_i32 v7, exec_hi, v255 ; encoding: [0x6a,0x70,0x21,0xcf,0x7f,0x00,0x00,0x00,0xff,0xff,0x00,0x07]
// W64-ERR: :[[@LINE-2]]:1: error: instruction requires wavesize=32

v_dual_mov_b32 v255, src_scc :: v_dual_max_i32 v7, -1, v255
// GFX1250: v_dual_mov_b32 v255, src_scc :: v_dual_max_i32 v7, -1, v255 ; encoding: [0xfd,0x70,0x21,0xcf,0xc1,0x00,0x00,0x00,0xff,0xff,0x00,0x07]
// W64-ERR: :[[@LINE-2]]:1: error: instruction requires wavesize=32

v_dual_mov_b32 v255, 0.5 :: v_dual_max_i32 v7, 0.5, v3
// GFX1250: v_dual_mov_b32 v255, 0.5 :: v_dual_max_i32 v7, 0.5, v3 ; encoding: [0xf0,0x70,0x21,0xcf,0xf0,0x00,0x00,0x00,0xff,0x03,0x00,0x07]
// W64-ERR: :[[@LINE-2]]:1: error: instruction requires wavesize=32

v_dual_mov_b32 v255, -1 :: v_dual_max_i32 v7, src_scc, v4
// GFX1250: v_dual_mov_b32 v255, -1 :: v_dual_max_i32 v7, src_scc, v4 ; encoding: [0xc1,0x70,0x21,0xcf,0xfd,0x00,0x00,0x00,0xff,0x04,0x00,0x07]
// W64-ERR: :[[@LINE-2]]:1: error: instruction requires wavesize=32

v_dual_mul_dx9_zero_f32 v255, v4, v2 :: v_dual_max_i32 v7, v1, v3
// GFX1250: v_dual_mul_dx9_zero_f32 v255, v4, v2 :: v_dual_max_i32 v7, v1, v3 ; encoding: [0x04,0x71,0x1d,0xcf,0x01,0x01,0x02,0x00,0xff,0x03,0x00,0x07]
// W64-ERR: :[[@LINE-2]]:1: error: instruction requires wavesize=32

v_dual_mul_dx9_zero_f32 v255, v1, v2 :: v_dual_max_i32 v7, v255, v3
// GFX1250: v_dual_mul_dx9_zero_f32 v255, v1, v2 :: v_dual_max_i32 v7, v255, v3 ; encoding: [0x01,0x71,0x1d,0xcf,0xff,0x01,0x02,0x00,0xff,0x03,0x00,0x07]
	;; [unrolled: 4-line block ×7, first 2 shown]
// W64-ERR: :[[@LINE-2]]:1: error: instruction requires wavesize=32

v_dual_mul_dx9_zero_f32 v255, ttmp15, v2 :: v_dual_max_i32 v7, vcc_lo, v3
// GFX1250: v_dual_mul_dx9_zero_f32 v255, ttmp15, v2 :: v_dual_max_i32 v7, vcc_lo, v3 ; encoding: [0x7b,0x70,0x1d,0xcf,0x6a,0x00,0x02,0x00,0xff,0x03,0x00,0x07]
// W64-ERR: :[[@LINE-2]]:1: error: instruction requires wavesize=32

v_dual_mul_dx9_zero_f32 v255, exec_hi, v2 :: v_dual_max_i32 v7, vcc_hi, v3
// GFX1250: v_dual_mul_dx9_zero_f32 v255, exec_hi, v2 :: v_dual_max_i32 v7, vcc_hi, v3 ; encoding: [0x7f,0x70,0x1d,0xcf,0x6b,0x00,0x02,0x00,0xff,0x03,0x00,0x07]
// W64-ERR: :[[@LINE-2]]:1: error: instruction requires wavesize=32

v_dual_mul_dx9_zero_f32 v255, exec_lo, v2 :: v_dual_max_i32 v7, ttmp15, v3
// GFX1250: v_dual_mul_dx9_zero_f32 v255, exec_lo, v2 :: v_dual_max_i32 v7, ttmp15, v3 ; encoding: [0x7e,0x70,0x1d,0xcf,0x7b,0x00,0x02,0x00,0xff,0x03,0x00,0x07]
// W64-ERR: :[[@LINE-2]]:1: error: instruction requires wavesize=32

v_dual_mul_dx9_zero_f32 v255, m0, v2 :: v_dual_max_i32 v7, m0, v3
// GFX1250: v_dual_mul_dx9_zero_f32 v255, m0, v2 :: v_dual_max_i32 v7, m0, v3 ; encoding: [0x7d,0x70,0x1d,0xcf,0x7d,0x00,0x02,0x00,0xff,0x03,0x00,0x07]
// W64-ERR: :[[@LINE-2]]:1: error: instruction requires wavesize=32

v_dual_mul_dx9_zero_f32 v255, vcc_hi, v2 :: v_dual_max_i32 v7, exec_lo, v3
// GFX1250: v_dual_mul_dx9_zero_f32 v255, vcc_hi, v2 :: v_dual_max_i32 v7, exec_lo, v3 ; encoding: [0x6b,0x70,0x1d,0xcf,0x7e,0x00,0x02,0x00,0xff,0x03,0x00,0x07]
// W64-ERR: :[[@LINE-2]]:1: error: instruction requires wavesize=32

v_dual_mul_dx9_zero_f32 v255, vcc_lo, v2 :: v_dual_max_i32 v7, exec_hi, v3
// GFX1250: v_dual_mul_dx9_zero_f32 v255, vcc_lo, v2 :: v_dual_max_i32 v7, exec_hi, v3 ; encoding: [0x6a,0x70,0x1d,0xcf,0x7f,0x00,0x02,0x00,0xff,0x03,0x00,0x07]
// W64-ERR: :[[@LINE-2]]:1: error: instruction requires wavesize=32

v_dual_mul_dx9_zero_f32 v255, src_scc, v2 :: v_dual_max_i32 v7, -1, v3
// GFX1250: v_dual_mul_dx9_zero_f32 v255, src_scc, v2 :: v_dual_max_i32 v7, -1, v3 ; encoding: [0xfd,0x70,0x1d,0xcf,0xc1,0x00,0x02,0x00,0xff,0x03,0x00,0x07]
// W64-ERR: :[[@LINE-2]]:1: error: instruction requires wavesize=32

v_dual_mul_dx9_zero_f32 v255, 0.5, v3 :: v_dual_max_i32 v7, 0.5, v2
// GFX1250: v_dual_mul_dx9_zero_f32 v255, 0.5, v3 :: v_dual_max_i32 v7, 0.5, v2 ; encoding: [0xf0,0x70,0x1d,0xcf,0xf0,0x00,0x03,0x00,0xff,0x02,0x00,0x07]
// W64-ERR: :[[@LINE-2]]:1: error: instruction requires wavesize=32

v_dual_mul_dx9_zero_f32 v255, -1, v4 :: v_dual_max_i32 v7, src_scc, v5
// GFX1250: v_dual_mul_dx9_zero_f32 v255, -1, v4 :: v_dual_max_i32 v7, src_scc, v5 ; encoding: [0xc1,0x70,0x1d,0xcf,0xfd,0x00,0x04,0x00,0xff,0x05,0x00,0x07]
// W64-ERR: :[[@LINE-2]]:1: error: instruction requires wavesize=32

v_dual_mul_f32 v255, v4, v2 :: v_dual_max_i32 v7, v1, v3
// GFX1250: v_dual_mul_f32 v255, v4, v2 :: v_dual_max_i32 v7, v1, v3 ; encoding: [0x04,0x71,0x0d,0xcf,0x01,0x01,0x02,0x00,0xff,0x03,0x00,0x07]
// W64-ERR: :[[@LINE-2]]:1: error: instruction requires wavesize=32

v_dual_mul_f32 v255, v1, v2 :: v_dual_max_i32 v7, v255, v3
// GFX1250: v_dual_mul_f32 v255, v1, v2 :: v_dual_max_i32 v7, v255, v3 ; encoding: [0x01,0x71,0x0d,0xcf,0xff,0x01,0x02,0x00,0xff,0x03,0x00,0x07]
// W64-ERR: :[[@LINE-2]]:1: error: instruction requires wavesize=32

v_dual_mul_f32 v255, v255, v2 :: v_dual_max_i32 v7, v2, v3
// GFX1250: v_dual_mul_f32 v255, v255, v2 :: v_dual_max_i32 v7, v2, v3 ; encoding: [0xff,0x71,0x0d,0xcf,0x02,0x01,0x02,0x00,0xff,0x03,0x00,0x07]
// W64-ERR: :[[@LINE-2]]:1: error: instruction requires wavesize=32

v_dual_mul_f32 v255, v2, v2 :: v_dual_max_i32 v7, v3, v3
// GFX1250: v_dual_mul_f32 v255, v2, v2 :: v_dual_max_i32 v7, v3, v3 ; encoding: [0x02,0x71,0x0d,0xcf,0x03,0x01,0x02,0x00,0xff,0x03,0x00,0x07]
// W64-ERR: :[[@LINE-2]]:1: error: instruction requires wavesize=32

v_dual_mul_f32 v255, v3, v2 :: v_dual_max_i32 v7, v4, v3
// GFX1250: v_dual_mul_f32 v255, v3, v2 :: v_dual_max_i32 v7, v4, v3 ; encoding: [0x03,0x71,0x0d,0xcf,0x04,0x01,0x02,0x00,0xff,0x03,0x00,0x07]
// W64-ERR: :[[@LINE-2]]:1: error: instruction requires wavesize=32

v_dual_mul_f32 v255, s105, v2 :: v_dual_max_i32 v7, s1, v3
// GFX1250: v_dual_mul_f32 v255, s105, v2 :: v_dual_max_i32 v7, s1, v3 ; encoding: [0x69,0x70,0x0d,0xcf,0x01,0x00,0x02,0x00,0xff,0x03,0x00,0x07]
// W64-ERR: :[[@LINE-2]]:1: error: instruction requires wavesize=32

v_dual_mul_f32 v255, s1, v2 :: v_dual_max_i32 v7, s105, v3
// GFX1250: v_dual_mul_f32 v255, s1, v2 :: v_dual_max_i32 v7, s105, v3 ; encoding: [0x01,0x70,0x0d,0xcf,0x69,0x00,0x02,0x00,0xff,0x03,0x00,0x07]
// W64-ERR: :[[@LINE-2]]:1: error: instruction requires wavesize=32

v_dual_mul_f32 v255, ttmp15, v2 :: v_dual_max_i32 v7, vcc_lo, v3
// GFX1250: v_dual_mul_f32 v255, ttmp15, v2 :: v_dual_max_i32 v7, vcc_lo, v3 ; encoding: [0x7b,0x70,0x0d,0xcf,0x6a,0x00,0x02,0x00,0xff,0x03,0x00,0x07]
// W64-ERR: :[[@LINE-2]]:1: error: instruction requires wavesize=32

v_dual_mul_f32 v255, exec_hi, v2 :: v_dual_max_i32 v7, vcc_hi, v3
// GFX1250: v_dual_mul_f32 v255, exec_hi, v2 :: v_dual_max_i32 v7, vcc_hi, v3 ; encoding: [0x7f,0x70,0x0d,0xcf,0x6b,0x00,0x02,0x00,0xff,0x03,0x00,0x07]
// W64-ERR: :[[@LINE-2]]:1: error: instruction requires wavesize=32

v_dual_mul_f32 v255, exec_lo, v2 :: v_dual_max_i32 v7, ttmp15, v3
// GFX1250: v_dual_mul_f32 v255, exec_lo, v2 :: v_dual_max_i32 v7, ttmp15, v3 ; encoding: [0x7e,0x70,0x0d,0xcf,0x7b,0x00,0x02,0x00,0xff,0x03,0x00,0x07]
// W64-ERR: :[[@LINE-2]]:1: error: instruction requires wavesize=32

v_dual_mul_f32 v255, m0, v2 :: v_dual_max_i32 v7, m0, v3
// GFX1250: v_dual_mul_f32 v255, m0, v2 :: v_dual_max_i32 v7, m0, v3 ; encoding: [0x7d,0x70,0x0d,0xcf,0x7d,0x00,0x02,0x00,0xff,0x03,0x00,0x07]
// W64-ERR: :[[@LINE-2]]:1: error: instruction requires wavesize=32

v_dual_mul_f32 v255, vcc_hi, v2 :: v_dual_max_i32 v7, exec_lo, v3
// GFX1250: v_dual_mul_f32 v255, vcc_hi, v2 :: v_dual_max_i32 v7, exec_lo, v3 ; encoding: [0x6b,0x70,0x0d,0xcf,0x7e,0x00,0x02,0x00,0xff,0x03,0x00,0x07]
// W64-ERR: :[[@LINE-2]]:1: error: instruction requires wavesize=32

v_dual_mul_f32 v255, vcc_lo, v2 :: v_dual_max_i32 v7, exec_hi, v3
// GFX1250: v_dual_mul_f32 v255, vcc_lo, v2 :: v_dual_max_i32 v7, exec_hi, v3 ; encoding: [0x6a,0x70,0x0d,0xcf,0x7f,0x00,0x02,0x00,0xff,0x03,0x00,0x07]
// W64-ERR: :[[@LINE-2]]:1: error: instruction requires wavesize=32

v_dual_mul_f32 v255, src_scc, v2 :: v_dual_max_i32 v7, -1, v3
// GFX1250: v_dual_mul_f32 v255, src_scc, v2 :: v_dual_max_i32 v7, -1, v3 ; encoding: [0xfd,0x70,0x0d,0xcf,0xc1,0x00,0x02,0x00,0xff,0x03,0x00,0x07]
// W64-ERR: :[[@LINE-2]]:1: error: instruction requires wavesize=32

v_dual_mul_f32 v255, 0.5, v3 :: v_dual_max_i32 v7, 0.5, v2
// GFX1250: v_dual_mul_f32 v255, 0.5, v3 :: v_dual_max_i32 v7, 0.5, v2 ; encoding: [0xf0,0x70,0x0d,0xcf,0xf0,0x00,0x03,0x00,0xff,0x02,0x00,0x07]
// W64-ERR: :[[@LINE-2]]:1: error: instruction requires wavesize=32

v_dual_mul_f32 v255, -1, v4 :: v_dual_max_i32 v7, src_scc, v5
// GFX1250: v_dual_mul_f32 v255, -1, v4 :: v_dual_max_i32 v7, src_scc, v5 ; encoding: [0xc1,0x70,0x0d,0xcf,0xfd,0x00,0x04,0x00,0xff,0x05,0x00,0x07]
// W64-ERR: :[[@LINE-2]]:1: error: instruction requires wavesize=32

v_dual_sub_f32 v255, v4, v2 :: v_dual_max_i32 v7, v1, v3
// GFX1250: v_dual_sub_f32 v255, v4, v2 :: v_dual_max_i32 v7, v1, v3 ; encoding: [0x04,0x71,0x15,0xcf,0x01,0x01,0x02,0x00,0xff,0x03,0x00,0x07]
// W64-ERR: :[[@LINE-2]]:1: error: instruction requires wavesize=32

v_dual_sub_f32 v255, v1, v2 :: v_dual_max_i32 v7, v255, v3
// GFX1250: v_dual_sub_f32 v255, v1, v2 :: v_dual_max_i32 v7, v255, v3 ; encoding: [0x01,0x71,0x15,0xcf,0xff,0x01,0x02,0x00,0xff,0x03,0x00,0x07]
	;; [unrolled: 4-line block ×7, first 2 shown]
// W64-ERR: :[[@LINE-2]]:1: error: instruction requires wavesize=32

v_dual_sub_f32 v255, ttmp15, v2 :: v_dual_max_i32 v7, vcc_lo, v3
// GFX1250: v_dual_sub_f32 v255, ttmp15, v2 :: v_dual_max_i32 v7, vcc_lo, v3 ; encoding: [0x7b,0x70,0x15,0xcf,0x6a,0x00,0x02,0x00,0xff,0x03,0x00,0x07]
// W64-ERR: :[[@LINE-2]]:1: error: instruction requires wavesize=32

v_dual_sub_f32 v255, exec_hi, v2 :: v_dual_max_i32 v7, vcc_hi, v3
// GFX1250: v_dual_sub_f32 v255, exec_hi, v2 :: v_dual_max_i32 v7, vcc_hi, v3 ; encoding: [0x7f,0x70,0x15,0xcf,0x6b,0x00,0x02,0x00,0xff,0x03,0x00,0x07]
// W64-ERR: :[[@LINE-2]]:1: error: instruction requires wavesize=32

v_dual_sub_f32 v255, exec_lo, v2 :: v_dual_max_i32 v7, ttmp15, v3
// GFX1250: v_dual_sub_f32 v255, exec_lo, v2 :: v_dual_max_i32 v7, ttmp15, v3 ; encoding: [0x7e,0x70,0x15,0xcf,0x7b,0x00,0x02,0x00,0xff,0x03,0x00,0x07]
// W64-ERR: :[[@LINE-2]]:1: error: instruction requires wavesize=32

v_dual_sub_f32 v255, m0, v2 :: v_dual_max_i32 v7, m0, v3
// GFX1250: v_dual_sub_f32 v255, m0, v2 :: v_dual_max_i32 v7, m0, v3 ; encoding: [0x7d,0x70,0x15,0xcf,0x7d,0x00,0x02,0x00,0xff,0x03,0x00,0x07]
// W64-ERR: :[[@LINE-2]]:1: error: instruction requires wavesize=32

v_dual_sub_f32 v255, vcc_hi, v2 :: v_dual_max_i32 v7, exec_lo, v3
// GFX1250: v_dual_sub_f32 v255, vcc_hi, v2 :: v_dual_max_i32 v7, exec_lo, v3 ; encoding: [0x6b,0x70,0x15,0xcf,0x7e,0x00,0x02,0x00,0xff,0x03,0x00,0x07]
// W64-ERR: :[[@LINE-2]]:1: error: instruction requires wavesize=32

v_dual_sub_f32 v255, vcc_lo, v2 :: v_dual_max_i32 v7, exec_hi, v3
// GFX1250: v_dual_sub_f32 v255, vcc_lo, v2 :: v_dual_max_i32 v7, exec_hi, v3 ; encoding: [0x6a,0x70,0x15,0xcf,0x7f,0x00,0x02,0x00,0xff,0x03,0x00,0x07]
// W64-ERR: :[[@LINE-2]]:1: error: instruction requires wavesize=32

v_dual_sub_f32 v255, src_scc, v2 :: v_dual_max_i32 v7, -1, v3
// GFX1250: v_dual_sub_f32 v255, src_scc, v2 :: v_dual_max_i32 v7, -1, v3 ; encoding: [0xfd,0x70,0x15,0xcf,0xc1,0x00,0x02,0x00,0xff,0x03,0x00,0x07]
// W64-ERR: :[[@LINE-2]]:1: error: instruction requires wavesize=32

v_dual_sub_f32 v255, 0.5, v3 :: v_dual_max_i32 v7, 0.5, v2
// GFX1250: v_dual_sub_f32 v255, 0.5, v3 :: v_dual_max_i32 v7, 0.5, v2 ; encoding: [0xf0,0x70,0x15,0xcf,0xf0,0x00,0x03,0x00,0xff,0x02,0x00,0x07]
// W64-ERR: :[[@LINE-2]]:1: error: instruction requires wavesize=32

v_dual_sub_f32 v255, -1, v4 :: v_dual_max_i32 v7, src_scc, v5
// GFX1250: v_dual_sub_f32 v255, -1, v4 :: v_dual_max_i32 v7, src_scc, v5 ; encoding: [0xc1,0x70,0x15,0xcf,0xfd,0x00,0x04,0x00,0xff,0x05,0x00,0x07]
// W64-ERR: :[[@LINE-2]]:1: error: instruction requires wavesize=32

v_dual_subrev_f32 v255, v4, v2 :: v_dual_max_i32 v7, v1, v3
// GFX1250: v_dual_subrev_f32 v255, v4, v2 :: v_dual_max_i32 v7, v1, v3 ; encoding: [0x04,0x71,0x19,0xcf,0x01,0x01,0x02,0x00,0xff,0x03,0x00,0x07]
// W64-ERR: :[[@LINE-2]]:1: error: instruction requires wavesize=32

v_dual_subrev_f32 v255, v1, v2 :: v_dual_max_i32 v7, v255, v3
// GFX1250: v_dual_subrev_f32 v255, v1, v2 :: v_dual_max_i32 v7, v255, v3 ; encoding: [0x01,0x71,0x19,0xcf,0xff,0x01,0x02,0x00,0xff,0x03,0x00,0x07]
	;; [unrolled: 4-line block ×7, first 2 shown]
// W64-ERR: :[[@LINE-2]]:1: error: instruction requires wavesize=32

v_dual_subrev_f32 v255, ttmp15, v2 :: v_dual_max_i32 v7, vcc_lo, v3
// GFX1250: v_dual_subrev_f32 v255, ttmp15, v2 :: v_dual_max_i32 v7, vcc_lo, v3 ; encoding: [0x7b,0x70,0x19,0xcf,0x6a,0x00,0x02,0x00,0xff,0x03,0x00,0x07]
// W64-ERR: :[[@LINE-2]]:1: error: instruction requires wavesize=32

v_dual_subrev_f32 v255, exec_hi, v2 :: v_dual_max_i32 v7, vcc_hi, v3
// GFX1250: v_dual_subrev_f32 v255, exec_hi, v2 :: v_dual_max_i32 v7, vcc_hi, v3 ; encoding: [0x7f,0x70,0x19,0xcf,0x6b,0x00,0x02,0x00,0xff,0x03,0x00,0x07]
// W64-ERR: :[[@LINE-2]]:1: error: instruction requires wavesize=32

v_dual_subrev_f32 v255, exec_lo, v2 :: v_dual_max_i32 v7, ttmp15, v3
// GFX1250: v_dual_subrev_f32 v255, exec_lo, v2 :: v_dual_max_i32 v7, ttmp15, v3 ; encoding: [0x7e,0x70,0x19,0xcf,0x7b,0x00,0x02,0x00,0xff,0x03,0x00,0x07]
// W64-ERR: :[[@LINE-2]]:1: error: instruction requires wavesize=32

v_dual_subrev_f32 v255, m0, v2 :: v_dual_max_i32 v7, m0, v3
// GFX1250: v_dual_subrev_f32 v255, m0, v2 :: v_dual_max_i32 v7, m0, v3 ; encoding: [0x7d,0x70,0x19,0xcf,0x7d,0x00,0x02,0x00,0xff,0x03,0x00,0x07]
// W64-ERR: :[[@LINE-2]]:1: error: instruction requires wavesize=32

v_dual_subrev_f32 v255, vcc_hi, v2 :: v_dual_max_i32 v7, exec_lo, v3
// GFX1250: v_dual_subrev_f32 v255, vcc_hi, v2 :: v_dual_max_i32 v7, exec_lo, v3 ; encoding: [0x6b,0x70,0x19,0xcf,0x7e,0x00,0x02,0x00,0xff,0x03,0x00,0x07]
// W64-ERR: :[[@LINE-2]]:1: error: instruction requires wavesize=32

v_dual_subrev_f32 v255, vcc_lo, v2 :: v_dual_max_i32 v7, exec_hi, v3
// GFX1250: v_dual_subrev_f32 v255, vcc_lo, v2 :: v_dual_max_i32 v7, exec_hi, v3 ; encoding: [0x6a,0x70,0x19,0xcf,0x7f,0x00,0x02,0x00,0xff,0x03,0x00,0x07]
// W64-ERR: :[[@LINE-2]]:1: error: instruction requires wavesize=32

v_dual_subrev_f32 v255, src_scc, v2 :: v_dual_max_i32 v7, -1, v3
// GFX1250: v_dual_subrev_f32 v255, src_scc, v2 :: v_dual_max_i32 v7, -1, v3 ; encoding: [0xfd,0x70,0x19,0xcf,0xc1,0x00,0x02,0x00,0xff,0x03,0x00,0x07]
// W64-ERR: :[[@LINE-2]]:1: error: instruction requires wavesize=32

v_dual_subrev_f32 v255, 0.5, v3 :: v_dual_max_i32 v7, 0.5, v2
// GFX1250: v_dual_subrev_f32 v255, 0.5, v3 :: v_dual_max_i32 v7, 0.5, v2 ; encoding: [0xf0,0x70,0x19,0xcf,0xf0,0x00,0x03,0x00,0xff,0x02,0x00,0x07]
// W64-ERR: :[[@LINE-2]]:1: error: instruction requires wavesize=32

v_dual_subrev_f32 v255, -1, v4 :: v_dual_max_i32 v7, src_scc, v5
// GFX1250: v_dual_subrev_f32 v255, -1, v4 :: v_dual_max_i32 v7, src_scc, v5 ; encoding: [0xc1,0x70,0x19,0xcf,0xfd,0x00,0x04,0x00,0xff,0x05,0x00,0x07]
// W64-ERR: :[[@LINE-2]]:1: error: instruction requires wavesize=32

v_dual_add_f32 v255, v4, v2 :: v_dual_min_i32 v7, v1, v3
// GFX1250: v_dual_add_f32 v255, v4, v2 :: v_dual_min_i32 v7, v1, v3 ; encoding: [0x04,0x81,0x11,0xcf,0x01,0x01,0x02,0x00,0xff,0x03,0x00,0x07]
// W64-ERR: :[[@LINE-2]]:1: error: instruction requires wavesize=32

v_dual_add_f32 v255, v1, v2 :: v_dual_min_i32 v7, v255, v3
// GFX1250: v_dual_add_f32 v255, v1, v2 :: v_dual_min_i32 v7, v255, v3 ; encoding: [0x01,0x81,0x11,0xcf,0xff,0x01,0x02,0x00,0xff,0x03,0x00,0x07]
	;; [unrolled: 4-line block ×7, first 2 shown]
// W64-ERR: :[[@LINE-2]]:1: error: instruction requires wavesize=32

v_dual_add_f32 v255, ttmp15, v2 :: v_dual_min_i32 v7, vcc_lo, v3
// GFX1250: v_dual_add_f32 v255, ttmp15, v2 :: v_dual_min_i32 v7, vcc_lo, v3 ; encoding: [0x7b,0x80,0x11,0xcf,0x6a,0x00,0x02,0x00,0xff,0x03,0x00,0x07]
// W64-ERR: :[[@LINE-2]]:1: error: instruction requires wavesize=32

v_dual_add_f32 v255, exec_hi, v2 :: v_dual_min_i32 v7, vcc_hi, v3
// GFX1250: v_dual_add_f32 v255, exec_hi, v2 :: v_dual_min_i32 v7, vcc_hi, v3 ; encoding: [0x7f,0x80,0x11,0xcf,0x6b,0x00,0x02,0x00,0xff,0x03,0x00,0x07]
// W64-ERR: :[[@LINE-2]]:1: error: instruction requires wavesize=32

v_dual_add_f32 v255, exec_lo, v2 :: v_dual_min_i32 v7, ttmp15, v3
// GFX1250: v_dual_add_f32 v255, exec_lo, v2 :: v_dual_min_i32 v7, ttmp15, v3 ; encoding: [0x7e,0x80,0x11,0xcf,0x7b,0x00,0x02,0x00,0xff,0x03,0x00,0x07]
// W64-ERR: :[[@LINE-2]]:1: error: instruction requires wavesize=32

v_dual_add_f32 v255, m0, v2 :: v_dual_min_i32 v7, m0, v3
// GFX1250: v_dual_add_f32 v255, m0, v2 :: v_dual_min_i32 v7, m0, v3 ; encoding: [0x7d,0x80,0x11,0xcf,0x7d,0x00,0x02,0x00,0xff,0x03,0x00,0x07]
// W64-ERR: :[[@LINE-2]]:1: error: instruction requires wavesize=32

v_dual_add_f32 v255, vcc_hi, v2 :: v_dual_min_i32 v7, exec_lo, v3
// GFX1250: v_dual_add_f32 v255, vcc_hi, v2 :: v_dual_min_i32 v7, exec_lo, v3 ; encoding: [0x6b,0x80,0x11,0xcf,0x7e,0x00,0x02,0x00,0xff,0x03,0x00,0x07]
// W64-ERR: :[[@LINE-2]]:1: error: instruction requires wavesize=32

v_dual_add_f32 v255, vcc_lo, v2 :: v_dual_min_i32 v7, exec_hi, v3
// GFX1250: v_dual_add_f32 v255, vcc_lo, v2 :: v_dual_min_i32 v7, exec_hi, v3 ; encoding: [0x6a,0x80,0x11,0xcf,0x7f,0x00,0x02,0x00,0xff,0x03,0x00,0x07]
// W64-ERR: :[[@LINE-2]]:1: error: instruction requires wavesize=32

v_dual_add_f32 v255, src_scc, v2 :: v_dual_min_i32 v7, -1, v3
// GFX1250: v_dual_add_f32 v255, src_scc, v2 :: v_dual_min_i32 v7, -1, v3 ; encoding: [0xfd,0x80,0x11,0xcf,0xc1,0x00,0x02,0x00,0xff,0x03,0x00,0x07]
// W64-ERR: :[[@LINE-2]]:1: error: instruction requires wavesize=32

v_dual_add_f32 v255, 0.5, v3 :: v_dual_min_i32 v7, 0.5, v2
// GFX1250: v_dual_add_f32 v255, 0.5, v3 :: v_dual_min_i32 v7, 0.5, v2 ; encoding: [0xf0,0x80,0x11,0xcf,0xf0,0x00,0x03,0x00,0xff,0x02,0x00,0x07]
// W64-ERR: :[[@LINE-2]]:1: error: instruction requires wavesize=32

v_dual_add_f32 v255, -1, v4 :: v_dual_min_i32 v7, src_scc, v5
// GFX1250: v_dual_add_f32 v255, -1, v4 :: v_dual_min_i32 v7, src_scc, v5 ; encoding: [0xc1,0x80,0x11,0xcf,0xfd,0x00,0x04,0x00,0xff,0x05,0x00,0x07]
// W64-ERR: :[[@LINE-2]]:1: error: instruction requires wavesize=32

v_dual_cndmask_b32 v255, v4, v2, vcc_lo :: v_dual_min_i32 v7, v1, v3
// GFX1250: v_dual_cndmask_b32 v255, v4, v2, vcc_lo :: v_dual_min_i32 v7, v1, v3 ; encoding: [0x04,0x81,0x25,0xcf,0x01,0x01,0x02,0x6a,0xff,0x03,0x00,0x07]
// W64-ERR: :[[@LINE-2]]:1: error: instruction requires wavesize=32

v_dual_cndmask_b32 v255, v1, v2, vcc_lo :: v_dual_min_i32 v7, v255, v3
// GFX1250: v_dual_cndmask_b32 v255, v1, v2, vcc_lo :: v_dual_min_i32 v7, v255, v3 ; encoding: [0x01,0x81,0x25,0xcf,0xff,0x01,0x02,0x6a,0xff,0x03,0x00,0x07]
// W64-ERR: :[[@LINE-2]]:1: error: instruction requires wavesize=32

v_dual_cndmask_b32 v255, v255, v2, vcc_lo :: v_dual_min_i32 v7, v2, v3
// GFX1250: v_dual_cndmask_b32 v255, v255, v2, vcc_lo :: v_dual_min_i32 v7, v2, v3 ; encoding: [0xff,0x81,0x25,0xcf,0x02,0x01,0x02,0x6a,0xff,0x03,0x00,0x07]
// W64-ERR: :[[@LINE-2]]:1: error: instruction requires wavesize=32

v_dual_cndmask_b32 v255, v2, v2, vcc_lo :: v_dual_min_i32 v7, v3, v3
// GFX1250: v_dual_cndmask_b32 v255, v2, v2, vcc_lo :: v_dual_min_i32 v7, v3, v3 ; encoding: [0x02,0x81,0x25,0xcf,0x03,0x01,0x02,0x6a,0xff,0x03,0x00,0x07]
// W64-ERR: :[[@LINE-2]]:1: error: instruction requires wavesize=32

v_dual_cndmask_b32 v255, v3, v2, vcc_lo :: v_dual_min_i32 v7, v4, v3
// GFX1250: v_dual_cndmask_b32 v255, v3, v2, vcc_lo :: v_dual_min_i32 v7, v4, v3 ; encoding: [0x03,0x81,0x25,0xcf,0x04,0x01,0x02,0x6a,0xff,0x03,0x00,0x07]
// W64-ERR: :[[@LINE-2]]:1: error: instruction requires wavesize=32

v_dual_cndmask_b32 v255, s105, v2, vcc_lo :: v_dual_min_i32 v7, s105, v3
// GFX1250: v_dual_cndmask_b32 v255, s105, v2, vcc_lo :: v_dual_min_i32 v7, s105, v3 ; encoding: [0x69,0x80,0x25,0xcf,0x69,0x00,0x02,0x6a,0xff,0x03,0x00,0x07]
// W64-ERR: :[[@LINE-2]]:1: error: instruction requires wavesize=32

v_dual_cndmask_b32 v255, s1, v2, vcc_lo :: v_dual_min_i32 v7, s1, v3
// GFX1250: v_dual_cndmask_b32 v255, s1, v2, vcc_lo :: v_dual_min_i32 v7, s1, v3 ; encoding: [0x01,0x80,0x25,0xcf,0x01,0x00,0x02,0x6a,0xff,0x03,0x00,0x07]
// W64-ERR: :[[@LINE-2]]:1: error: instruction requires wavesize=32

v_dual_cndmask_b32 v255, ttmp15, v2, vcc_lo :: v_dual_min_i32 v7, ttmp15, v3
// GFX1250: v_dual_cndmask_b32 v255, ttmp15, v2, vcc_lo :: v_dual_min_i32 v7, ttmp15, v3 ; encoding: [0x7b,0x80,0x25,0xcf,0x7b,0x00,0x02,0x6a,0xff,0x03,0x00,0x07]
// W64-ERR: :[[@LINE-2]]:1: error: instruction requires wavesize=32

v_dual_cndmask_b32 v255, exec_hi, v2, vcc_lo :: v_dual_min_i32 v7, exec_hi, v3
// GFX1250: v_dual_cndmask_b32 v255, exec_hi, v2, vcc_lo :: v_dual_min_i32 v7, exec_hi, v3 ; encoding: [0x7f,0x80,0x25,0xcf,0x7f,0x00,0x02,0x6a,0xff,0x03,0x00,0x07]
// W64-ERR: :[[@LINE-2]]:1: error: instruction requires wavesize=32

v_dual_cndmask_b32 v255, exec_lo, v2, vcc_lo :: v_dual_min_i32 v7, exec_lo, v3
// GFX1250: v_dual_cndmask_b32 v255, exec_lo, v2, vcc_lo :: v_dual_min_i32 v7, exec_lo, v3 ; encoding: [0x7e,0x80,0x25,0xcf,0x7e,0x00,0x02,0x6a,0xff,0x03,0x00,0x07]
// W64-ERR: :[[@LINE-2]]:1: error: instruction requires wavesize=32

v_dual_cndmask_b32 v255, m0, v2, vcc_lo :: v_dual_min_i32 v7, m0, v3
// GFX1250: v_dual_cndmask_b32 v255, m0, v2, vcc_lo :: v_dual_min_i32 v7, m0, v3 ; encoding: [0x7d,0x80,0x25,0xcf,0x7d,0x00,0x02,0x6a,0xff,0x03,0x00,0x07]
// W64-ERR: :[[@LINE-2]]:1: error: instruction requires wavesize=32

v_dual_cndmask_b32 v255, vcc_hi, v2, vcc_lo :: v_dual_min_i32 v7, vcc_hi, v3
// GFX1250: v_dual_cndmask_b32 v255, vcc_hi, v2, vcc_lo :: v_dual_min_i32 v7, vcc_hi, v3 ; encoding: [0x6b,0x80,0x25,0xcf,0x6b,0x00,0x02,0x6a,0xff,0x03,0x00,0x07]
// W64-ERR: :[[@LINE-2]]:1: error: instruction requires wavesize=32

v_dual_cndmask_b32 v255, vcc_lo, v2, vcc_lo :: v_dual_min_i32 v7, vcc_lo, v3
// GFX1250: v_dual_cndmask_b32 v255, vcc_lo, v2, vcc_lo :: v_dual_min_i32 v7, vcc_lo, v3 ; encoding: [0x6a,0x80,0x25,0xcf,0x6a,0x00,0x02,0x6a,0xff,0x03,0x00,0x07]
// W64-ERR: :[[@LINE-2]]:1: error: instruction requires wavesize=32

v_dual_cndmask_b32 v255, src_scc, v2, vcc_lo :: v_dual_min_i32 v7, -1, v3
// GFX1250: v_dual_cndmask_b32 v255, src_scc, v2, vcc_lo :: v_dual_min_i32 v7, -1, v3 ; encoding: [0xfd,0x80,0x25,0xcf,0xc1,0x00,0x02,0x6a,0xff,0x03,0x00,0x07]
// W64-ERR: :[[@LINE-2]]:1: error: instruction requires wavesize=32

v_dual_cndmask_b32 v255, 0.5, v3, vcc_lo :: v_dual_min_i32 v7, 0.5, v2
// GFX1250: v_dual_cndmask_b32 v255, 0.5, v3, vcc_lo :: v_dual_min_i32 v7, 0.5, v2 ; encoding: [0xf0,0x80,0x25,0xcf,0xf0,0x00,0x03,0x6a,0xff,0x02,0x00,0x07]
// W64-ERR: :[[@LINE-2]]:1: error: instruction requires wavesize=32

v_dual_cndmask_b32 v255, -1, v4, vcc_lo :: v_dual_min_i32 v7, src_scc, v5
// GFX1250: v_dual_cndmask_b32 v255, -1, v4, vcc_lo :: v_dual_min_i32 v7, src_scc, v5 ; encoding: [0xc1,0x80,0x25,0xcf,0xfd,0x00,0x04,0x6a,0xff,0x05,0x00,0x07]
// W64-ERR: :[[@LINE-2]]:1: error: instruction requires wavesize=32

v_dual_fmac_f32 v255, v4, v2 :: v_dual_min_i32 v7, v1, v3
// GFX1250: v_dual_fmac_f32 v255, v4, v2 :: v_dual_min_i32 v7, v1, v3 ; encoding: [0x04,0x81,0x01,0xcf,0x01,0x01,0x02,0x00,0xff,0x03,0x00,0x07]
// W64-ERR: :[[@LINE-2]]:1: error: instruction requires wavesize=32

v_dual_fmac_f32 v255, v1, v2 :: v_dual_min_i32 v7, v255, v3
// GFX1250: v_dual_fmac_f32 v255, v1, v2 :: v_dual_min_i32 v7, v255, v3 ; encoding: [0x01,0x81,0x01,0xcf,0xff,0x01,0x02,0x00,0xff,0x03,0x00,0x07]
	;; [unrolled: 4-line block ×7, first 2 shown]
// W64-ERR: :[[@LINE-2]]:1: error: instruction requires wavesize=32

v_dual_fmac_f32 v255, ttmp15, v2 :: v_dual_min_i32 v7, vcc_lo, v3
// GFX1250: v_dual_fmac_f32 v255, ttmp15, v2 :: v_dual_min_i32 v7, vcc_lo, v3 ; encoding: [0x7b,0x80,0x01,0xcf,0x6a,0x00,0x02,0x00,0xff,0x03,0x00,0x07]
// W64-ERR: :[[@LINE-2]]:1: error: instruction requires wavesize=32

v_dual_fmac_f32 v255, exec_hi, v2 :: v_dual_min_i32 v7, vcc_hi, v3
// GFX1250: v_dual_fmac_f32 v255, exec_hi, v2 :: v_dual_min_i32 v7, vcc_hi, v3 ; encoding: [0x7f,0x80,0x01,0xcf,0x6b,0x00,0x02,0x00,0xff,0x03,0x00,0x07]
// W64-ERR: :[[@LINE-2]]:1: error: instruction requires wavesize=32

v_dual_fmac_f32 v255, exec_lo, v2 :: v_dual_min_i32 v7, ttmp15, v3
// GFX1250: v_dual_fmac_f32 v255, exec_lo, v2 :: v_dual_min_i32 v7, ttmp15, v3 ; encoding: [0x7e,0x80,0x01,0xcf,0x7b,0x00,0x02,0x00,0xff,0x03,0x00,0x07]
// W64-ERR: :[[@LINE-2]]:1: error: instruction requires wavesize=32

v_dual_fmac_f32 v255, m0, v2 :: v_dual_min_i32 v7, m0, v3
// GFX1250: v_dual_fmac_f32 v255, m0, v2 :: v_dual_min_i32 v7, m0, v3 ; encoding: [0x7d,0x80,0x01,0xcf,0x7d,0x00,0x02,0x00,0xff,0x03,0x00,0x07]
// W64-ERR: :[[@LINE-2]]:1: error: instruction requires wavesize=32

v_dual_fmac_f32 v255, vcc_hi, v2 :: v_dual_min_i32 v7, exec_lo, v3
// GFX1250: v_dual_fmac_f32 v255, vcc_hi, v2 :: v_dual_min_i32 v7, exec_lo, v3 ; encoding: [0x6b,0x80,0x01,0xcf,0x7e,0x00,0x02,0x00,0xff,0x03,0x00,0x07]
// W64-ERR: :[[@LINE-2]]:1: error: instruction requires wavesize=32

v_dual_fmac_f32 v255, vcc_lo, v2 :: v_dual_min_i32 v7, exec_hi, v3
// GFX1250: v_dual_fmac_f32 v255, vcc_lo, v2 :: v_dual_min_i32 v7, exec_hi, v3 ; encoding: [0x6a,0x80,0x01,0xcf,0x7f,0x00,0x02,0x00,0xff,0x03,0x00,0x07]
// W64-ERR: :[[@LINE-2]]:1: error: instruction requires wavesize=32

v_dual_fmac_f32 v255, src_scc, v2 :: v_dual_min_i32 v7, -1, v3
// GFX1250: v_dual_fmac_f32 v255, src_scc, v2 :: v_dual_min_i32 v7, -1, v3 ; encoding: [0xfd,0x80,0x01,0xcf,0xc1,0x00,0x02,0x00,0xff,0x03,0x00,0x07]
// W64-ERR: :[[@LINE-2]]:1: error: instruction requires wavesize=32

v_dual_fmac_f32 v255, 0.5, v3 :: v_dual_min_i32 v7, 0.5, v2
// GFX1250: v_dual_fmac_f32 v255, 0.5, v3 :: v_dual_min_i32 v7, 0.5, v2 ; encoding: [0xf0,0x80,0x01,0xcf,0xf0,0x00,0x03,0x00,0xff,0x02,0x00,0x07]
// W64-ERR: :[[@LINE-2]]:1: error: instruction requires wavesize=32

v_dual_fmac_f32 v255, -1, v4 :: v_dual_min_i32 v7, src_scc, v5
// GFX1250: v_dual_fmac_f32 v255, -1, v4 :: v_dual_min_i32 v7, src_scc, v5 ; encoding: [0xc1,0x80,0x01,0xcf,0xfd,0x00,0x04,0x00,0xff,0x05,0x00,0x07]
// W64-ERR: :[[@LINE-2]]:1: error: instruction requires wavesize=32

v_dual_max_num_f32 v255, v4, v2 :: v_dual_min_i32 v7, v1, v3
// GFX1250: v_dual_max_num_f32 v255, v4, v2 :: v_dual_min_i32 v7, v1, v3 ; encoding: [0x04,0x81,0x29,0xcf,0x01,0x01,0x02,0x00,0xff,0x03,0x00,0x07]
// W64-ERR: :[[@LINE-2]]:1: error: instruction requires wavesize=32

v_dual_max_num_f32 v255, v1, v2 :: v_dual_min_i32 v7, v255, v3
// GFX1250: v_dual_max_num_f32 v255, v1, v2 :: v_dual_min_i32 v7, v255, v3 ; encoding: [0x01,0x81,0x29,0xcf,0xff,0x01,0x02,0x00,0xff,0x03,0x00,0x07]
	;; [unrolled: 4-line block ×7, first 2 shown]
// W64-ERR: :[[@LINE-2]]:1: error: instruction requires wavesize=32

v_dual_max_num_f32 v255, ttmp15, v2 :: v_dual_min_i32 v7, vcc_lo, v3
// GFX1250: v_dual_max_num_f32 v255, ttmp15, v2 :: v_dual_min_i32 v7, vcc_lo, v3 ; encoding: [0x7b,0x80,0x29,0xcf,0x6a,0x00,0x02,0x00,0xff,0x03,0x00,0x07]
// W64-ERR: :[[@LINE-2]]:1: error: instruction requires wavesize=32

v_dual_max_num_f32 v255, exec_hi, v2 :: v_dual_min_i32 v7, vcc_hi, v3
// GFX1250: v_dual_max_num_f32 v255, exec_hi, v2 :: v_dual_min_i32 v7, vcc_hi, v3 ; encoding: [0x7f,0x80,0x29,0xcf,0x6b,0x00,0x02,0x00,0xff,0x03,0x00,0x07]
// W64-ERR: :[[@LINE-2]]:1: error: instruction requires wavesize=32

v_dual_max_num_f32 v255, exec_lo, v2 :: v_dual_min_i32 v7, ttmp15, v3
// GFX1250: v_dual_max_num_f32 v255, exec_lo, v2 :: v_dual_min_i32 v7, ttmp15, v3 ; encoding: [0x7e,0x80,0x29,0xcf,0x7b,0x00,0x02,0x00,0xff,0x03,0x00,0x07]
// W64-ERR: :[[@LINE-2]]:1: error: instruction requires wavesize=32

v_dual_max_num_f32 v255, m0, v2 :: v_dual_min_i32 v7, m0, v3
// GFX1250: v_dual_max_num_f32 v255, m0, v2 :: v_dual_min_i32 v7, m0, v3 ; encoding: [0x7d,0x80,0x29,0xcf,0x7d,0x00,0x02,0x00,0xff,0x03,0x00,0x07]
// W64-ERR: :[[@LINE-2]]:1: error: instruction requires wavesize=32

v_dual_max_num_f32 v255, vcc_hi, v2 :: v_dual_min_i32 v7, exec_lo, v3
// GFX1250: v_dual_max_num_f32 v255, vcc_hi, v2 :: v_dual_min_i32 v7, exec_lo, v3 ; encoding: [0x6b,0x80,0x29,0xcf,0x7e,0x00,0x02,0x00,0xff,0x03,0x00,0x07]
// W64-ERR: :[[@LINE-2]]:1: error: instruction requires wavesize=32

v_dual_max_num_f32 v255, vcc_lo, v2 :: v_dual_min_i32 v7, exec_hi, v3
// GFX1250: v_dual_max_num_f32 v255, vcc_lo, v2 :: v_dual_min_i32 v7, exec_hi, v3 ; encoding: [0x6a,0x80,0x29,0xcf,0x7f,0x00,0x02,0x00,0xff,0x03,0x00,0x07]
// W64-ERR: :[[@LINE-2]]:1: error: instruction requires wavesize=32

v_dual_max_num_f32 v255, src_scc, v2 :: v_dual_min_i32 v7, -1, v3
// GFX1250: v_dual_max_num_f32 v255, src_scc, v2 :: v_dual_min_i32 v7, -1, v3 ; encoding: [0xfd,0x80,0x29,0xcf,0xc1,0x00,0x02,0x00,0xff,0x03,0x00,0x07]
// W64-ERR: :[[@LINE-2]]:1: error: instruction requires wavesize=32

v_dual_max_num_f32 v255, 0.5, v3 :: v_dual_min_i32 v7, 0.5, v2
// GFX1250: v_dual_max_num_f32 v255, 0.5, v3 :: v_dual_min_i32 v7, 0.5, v2 ; encoding: [0xf0,0x80,0x29,0xcf,0xf0,0x00,0x03,0x00,0xff,0x02,0x00,0x07]
// W64-ERR: :[[@LINE-2]]:1: error: instruction requires wavesize=32

v_dual_max_num_f32 v255, -1, v4 :: v_dual_min_i32 v7, src_scc, v5
// GFX1250: v_dual_max_num_f32 v255, -1, v4 :: v_dual_min_i32 v7, src_scc, v5 ; encoding: [0xc1,0x80,0x29,0xcf,0xfd,0x00,0x04,0x00,0xff,0x05,0x00,0x07]
// W64-ERR: :[[@LINE-2]]:1: error: instruction requires wavesize=32

v_dual_min_num_f32 v255, v4, v2 :: v_dual_min_i32 v7, v1, v3
// GFX1250: v_dual_min_num_f32 v255, v4, v2 :: v_dual_min_i32 v7, v1, v3 ; encoding: [0x04,0x81,0x2d,0xcf,0x01,0x01,0x02,0x00,0xff,0x03,0x00,0x07]
// W64-ERR: :[[@LINE-2]]:1: error: instruction requires wavesize=32

v_dual_min_num_f32 v255, v1, v2 :: v_dual_min_i32 v7, v255, v3
// GFX1250: v_dual_min_num_f32 v255, v1, v2 :: v_dual_min_i32 v7, v255, v3 ; encoding: [0x01,0x81,0x2d,0xcf,0xff,0x01,0x02,0x00,0xff,0x03,0x00,0x07]
	;; [unrolled: 4-line block ×7, first 2 shown]
// W64-ERR: :[[@LINE-2]]:1: error: instruction requires wavesize=32

v_dual_min_num_f32 v255, ttmp15, v2 :: v_dual_min_i32 v7, vcc_lo, v3
// GFX1250: v_dual_min_num_f32 v255, ttmp15, v2 :: v_dual_min_i32 v7, vcc_lo, v3 ; encoding: [0x7b,0x80,0x2d,0xcf,0x6a,0x00,0x02,0x00,0xff,0x03,0x00,0x07]
// W64-ERR: :[[@LINE-2]]:1: error: instruction requires wavesize=32

v_dual_min_num_f32 v255, exec_hi, v2 :: v_dual_min_i32 v7, vcc_hi, v3
// GFX1250: v_dual_min_num_f32 v255, exec_hi, v2 :: v_dual_min_i32 v7, vcc_hi, v3 ; encoding: [0x7f,0x80,0x2d,0xcf,0x6b,0x00,0x02,0x00,0xff,0x03,0x00,0x07]
// W64-ERR: :[[@LINE-2]]:1: error: instruction requires wavesize=32

v_dual_min_num_f32 v255, exec_lo, v2 :: v_dual_min_i32 v7, ttmp15, v3
// GFX1250: v_dual_min_num_f32 v255, exec_lo, v2 :: v_dual_min_i32 v7, ttmp15, v3 ; encoding: [0x7e,0x80,0x2d,0xcf,0x7b,0x00,0x02,0x00,0xff,0x03,0x00,0x07]
// W64-ERR: :[[@LINE-2]]:1: error: instruction requires wavesize=32

v_dual_min_num_f32 v255, m0, v2 :: v_dual_min_i32 v7, m0, v3
// GFX1250: v_dual_min_num_f32 v255, m0, v2 :: v_dual_min_i32 v7, m0, v3 ; encoding: [0x7d,0x80,0x2d,0xcf,0x7d,0x00,0x02,0x00,0xff,0x03,0x00,0x07]
// W64-ERR: :[[@LINE-2]]:1: error: instruction requires wavesize=32

v_dual_min_num_f32 v255, vcc_hi, v2 :: v_dual_min_i32 v7, exec_lo, v3
// GFX1250: v_dual_min_num_f32 v255, vcc_hi, v2 :: v_dual_min_i32 v7, exec_lo, v3 ; encoding: [0x6b,0x80,0x2d,0xcf,0x7e,0x00,0x02,0x00,0xff,0x03,0x00,0x07]
// W64-ERR: :[[@LINE-2]]:1: error: instruction requires wavesize=32

v_dual_min_num_f32 v255, vcc_lo, v2 :: v_dual_min_i32 v7, exec_hi, v3
// GFX1250: v_dual_min_num_f32 v255, vcc_lo, v2 :: v_dual_min_i32 v7, exec_hi, v3 ; encoding: [0x6a,0x80,0x2d,0xcf,0x7f,0x00,0x02,0x00,0xff,0x03,0x00,0x07]
// W64-ERR: :[[@LINE-2]]:1: error: instruction requires wavesize=32

v_dual_min_num_f32 v255, src_scc, v2 :: v_dual_min_i32 v7, -1, v3
// GFX1250: v_dual_min_num_f32 v255, src_scc, v2 :: v_dual_min_i32 v7, -1, v3 ; encoding: [0xfd,0x80,0x2d,0xcf,0xc1,0x00,0x02,0x00,0xff,0x03,0x00,0x07]
// W64-ERR: :[[@LINE-2]]:1: error: instruction requires wavesize=32

v_dual_min_num_f32 v255, 0.5, v3 :: v_dual_min_i32 v7, 0.5, v2
// GFX1250: v_dual_min_num_f32 v255, 0.5, v3 :: v_dual_min_i32 v7, 0.5, v2 ; encoding: [0xf0,0x80,0x2d,0xcf,0xf0,0x00,0x03,0x00,0xff,0x02,0x00,0x07]
// W64-ERR: :[[@LINE-2]]:1: error: instruction requires wavesize=32

v_dual_min_num_f32 v255, -1, v4 :: v_dual_min_i32 v7, src_scc, v5
// GFX1250: v_dual_min_num_f32 v255, -1, v4 :: v_dual_min_i32 v7, src_scc, v5 ; encoding: [0xc1,0x80,0x2d,0xcf,0xfd,0x00,0x04,0x00,0xff,0x05,0x00,0x07]
// W64-ERR: :[[@LINE-2]]:1: error: instruction requires wavesize=32

v_dual_mov_b32 v255, v4 :: v_dual_min_i32 v7, v1, v255
// GFX1250: v_dual_mov_b32 v255, v4 :: v_dual_min_i32 v7, v1, v255 ; encoding: [0x04,0x81,0x21,0xcf,0x01,0x01,0x00,0x00,0xff,0xff,0x00,0x07]
// W64-ERR: :[[@LINE-2]]:1: error: instruction requires wavesize=32

v_dual_mov_b32 v255, v1 :: v_dual_min_i32 v7, v255, v255
// GFX1250: v_dual_mov_b32 v255, v1 :: v_dual_min_i32 v7, v255, v255 ; encoding: [0x01,0x81,0x21,0xcf,0xff,0x01,0x00,0x00,0xff,0xff,0x00,0x07]
// W64-ERR: :[[@LINE-2]]:1: error: instruction requires wavesize=32

v_dual_mov_b32 v255, v255 :: v_dual_min_i32 v7, v2, v255
// GFX1250: v_dual_mov_b32 v255, v255 :: v_dual_min_i32 v7, v2, v255 ; encoding: [0xff,0x81,0x21,0xcf,0x02,0x01,0x00,0x00,0xff,0xff,0x00,0x07]
// W64-ERR: :[[@LINE-2]]:1: error: instruction requires wavesize=32

v_dual_mov_b32 v255, v2 :: v_dual_min_i32 v7, v3, v255
// GFX1250: v_dual_mov_b32 v255, v2 :: v_dual_min_i32 v7, v3, v255 ; encoding: [0x02,0x81,0x21,0xcf,0x03,0x01,0x00,0x00,0xff,0xff,0x00,0x07]
// W64-ERR: :[[@LINE-2]]:1: error: instruction requires wavesize=32

v_dual_mov_b32 v255, v3 :: v_dual_min_i32 v7, v4, v255
// GFX1250: v_dual_mov_b32 v255, v3 :: v_dual_min_i32 v7, v4, v255 ; encoding: [0x03,0x81,0x21,0xcf,0x04,0x01,0x00,0x00,0xff,0xff,0x00,0x07]
// W64-ERR: :[[@LINE-2]]:1: error: instruction requires wavesize=32

v_dual_mov_b32 v255, s105 :: v_dual_min_i32 v7, s1, v255
// GFX1250: v_dual_mov_b32 v255, s105 :: v_dual_min_i32 v7, s1, v255 ; encoding: [0x69,0x80,0x21,0xcf,0x01,0x00,0x00,0x00,0xff,0xff,0x00,0x07]
// W64-ERR: :[[@LINE-2]]:1: error: instruction requires wavesize=32

v_dual_mov_b32 v255, s1 :: v_dual_min_i32 v7, s105, v255
// GFX1250: v_dual_mov_b32 v255, s1 :: v_dual_min_i32 v7, s105, v255 ; encoding: [0x01,0x80,0x21,0xcf,0x69,0x00,0x00,0x00,0xff,0xff,0x00,0x07]
// W64-ERR: :[[@LINE-2]]:1: error: instruction requires wavesize=32

v_dual_mov_b32 v255, ttmp15 :: v_dual_min_i32 v7, vcc_lo, v255
// GFX1250: v_dual_mov_b32 v255, ttmp15 :: v_dual_min_i32 v7, vcc_lo, v255 ; encoding: [0x7b,0x80,0x21,0xcf,0x6a,0x00,0x00,0x00,0xff,0xff,0x00,0x07]
// W64-ERR: :[[@LINE-2]]:1: error: instruction requires wavesize=32

v_dual_mov_b32 v255, exec_hi :: v_dual_min_i32 v7, vcc_hi, v255
// GFX1250: v_dual_mov_b32 v255, exec_hi :: v_dual_min_i32 v7, vcc_hi, v255 ; encoding: [0x7f,0x80,0x21,0xcf,0x6b,0x00,0x00,0x00,0xff,0xff,0x00,0x07]
// W64-ERR: :[[@LINE-2]]:1: error: instruction requires wavesize=32

v_dual_mov_b32 v255, exec_lo :: v_dual_min_i32 v7, ttmp15, v255
// GFX1250: v_dual_mov_b32 v255, exec_lo :: v_dual_min_i32 v7, ttmp15, v255 ; encoding: [0x7e,0x80,0x21,0xcf,0x7b,0x00,0x00,0x00,0xff,0xff,0x00,0x07]
// W64-ERR: :[[@LINE-2]]:1: error: instruction requires wavesize=32

v_dual_mov_b32 v255, m0 :: v_dual_min_i32 v7, m0, v255
// GFX1250: v_dual_mov_b32 v255, m0 :: v_dual_min_i32 v7, m0, v255 ; encoding: [0x7d,0x80,0x21,0xcf,0x7d,0x00,0x00,0x00,0xff,0xff,0x00,0x07]
// W64-ERR: :[[@LINE-2]]:1: error: instruction requires wavesize=32

v_dual_mov_b32 v255, vcc_hi :: v_dual_min_i32 v7, exec_lo, v255
// GFX1250: v_dual_mov_b32 v255, vcc_hi :: v_dual_min_i32 v7, exec_lo, v255 ; encoding: [0x6b,0x80,0x21,0xcf,0x7e,0x00,0x00,0x00,0xff,0xff,0x00,0x07]
// W64-ERR: :[[@LINE-2]]:1: error: instruction requires wavesize=32

v_dual_mov_b32 v255, vcc_lo :: v_dual_min_i32 v7, exec_hi, v255
// GFX1250: v_dual_mov_b32 v255, vcc_lo :: v_dual_min_i32 v7, exec_hi, v255 ; encoding: [0x6a,0x80,0x21,0xcf,0x7f,0x00,0x00,0x00,0xff,0xff,0x00,0x07]
// W64-ERR: :[[@LINE-2]]:1: error: instruction requires wavesize=32

v_dual_mov_b32 v255, src_scc :: v_dual_min_i32 v7, -1, v255
// GFX1250: v_dual_mov_b32 v255, src_scc :: v_dual_min_i32 v7, -1, v255 ; encoding: [0xfd,0x80,0x21,0xcf,0xc1,0x00,0x00,0x00,0xff,0xff,0x00,0x07]
// W64-ERR: :[[@LINE-2]]:1: error: instruction requires wavesize=32

v_dual_mov_b32 v255, 0.5 :: v_dual_min_i32 v7, 0.5, v3
// GFX1250: v_dual_mov_b32 v255, 0.5 :: v_dual_min_i32 v7, 0.5, v3 ; encoding: [0xf0,0x80,0x21,0xcf,0xf0,0x00,0x00,0x00,0xff,0x03,0x00,0x07]
// W64-ERR: :[[@LINE-2]]:1: error: instruction requires wavesize=32

v_dual_mov_b32 v255, -1 :: v_dual_min_i32 v7, src_scc, v4
// GFX1250: v_dual_mov_b32 v255, -1 :: v_dual_min_i32 v7, src_scc, v4 ; encoding: [0xc1,0x80,0x21,0xcf,0xfd,0x00,0x00,0x00,0xff,0x04,0x00,0x07]
// W64-ERR: :[[@LINE-2]]:1: error: instruction requires wavesize=32

v_dual_mul_dx9_zero_f32 v255, v4, v2 :: v_dual_min_i32 v7, v1, v3
// GFX1250: v_dual_mul_dx9_zero_f32 v255, v4, v2 :: v_dual_min_i32 v7, v1, v3 ; encoding: [0x04,0x81,0x1d,0xcf,0x01,0x01,0x02,0x00,0xff,0x03,0x00,0x07]
// W64-ERR: :[[@LINE-2]]:1: error: instruction requires wavesize=32

v_dual_mul_dx9_zero_f32 v255, v1, v2 :: v_dual_min_i32 v7, v255, v3
// GFX1250: v_dual_mul_dx9_zero_f32 v255, v1, v2 :: v_dual_min_i32 v7, v255, v3 ; encoding: [0x01,0x81,0x1d,0xcf,0xff,0x01,0x02,0x00,0xff,0x03,0x00,0x07]
	;; [unrolled: 4-line block ×7, first 2 shown]
// W64-ERR: :[[@LINE-2]]:1: error: instruction requires wavesize=32

v_dual_mul_dx9_zero_f32 v255, ttmp15, v2 :: v_dual_min_i32 v7, vcc_lo, v3
// GFX1250: v_dual_mul_dx9_zero_f32 v255, ttmp15, v2 :: v_dual_min_i32 v7, vcc_lo, v3 ; encoding: [0x7b,0x80,0x1d,0xcf,0x6a,0x00,0x02,0x00,0xff,0x03,0x00,0x07]
// W64-ERR: :[[@LINE-2]]:1: error: instruction requires wavesize=32

v_dual_mul_dx9_zero_f32 v255, exec_hi, v2 :: v_dual_min_i32 v7, vcc_hi, v3
// GFX1250: v_dual_mul_dx9_zero_f32 v255, exec_hi, v2 :: v_dual_min_i32 v7, vcc_hi, v3 ; encoding: [0x7f,0x80,0x1d,0xcf,0x6b,0x00,0x02,0x00,0xff,0x03,0x00,0x07]
// W64-ERR: :[[@LINE-2]]:1: error: instruction requires wavesize=32

v_dual_mul_dx9_zero_f32 v255, exec_lo, v2 :: v_dual_min_i32 v7, ttmp15, v3
// GFX1250: v_dual_mul_dx9_zero_f32 v255, exec_lo, v2 :: v_dual_min_i32 v7, ttmp15, v3 ; encoding: [0x7e,0x80,0x1d,0xcf,0x7b,0x00,0x02,0x00,0xff,0x03,0x00,0x07]
// W64-ERR: :[[@LINE-2]]:1: error: instruction requires wavesize=32

v_dual_mul_dx9_zero_f32 v255, m0, v2 :: v_dual_min_i32 v7, m0, v3
// GFX1250: v_dual_mul_dx9_zero_f32 v255, m0, v2 :: v_dual_min_i32 v7, m0, v3 ; encoding: [0x7d,0x80,0x1d,0xcf,0x7d,0x00,0x02,0x00,0xff,0x03,0x00,0x07]
// W64-ERR: :[[@LINE-2]]:1: error: instruction requires wavesize=32

v_dual_mul_dx9_zero_f32 v255, vcc_hi, v2 :: v_dual_min_i32 v7, exec_lo, v3
// GFX1250: v_dual_mul_dx9_zero_f32 v255, vcc_hi, v2 :: v_dual_min_i32 v7, exec_lo, v3 ; encoding: [0x6b,0x80,0x1d,0xcf,0x7e,0x00,0x02,0x00,0xff,0x03,0x00,0x07]
// W64-ERR: :[[@LINE-2]]:1: error: instruction requires wavesize=32

v_dual_mul_dx9_zero_f32 v255, vcc_lo, v2 :: v_dual_min_i32 v7, exec_hi, v3
// GFX1250: v_dual_mul_dx9_zero_f32 v255, vcc_lo, v2 :: v_dual_min_i32 v7, exec_hi, v3 ; encoding: [0x6a,0x80,0x1d,0xcf,0x7f,0x00,0x02,0x00,0xff,0x03,0x00,0x07]
// W64-ERR: :[[@LINE-2]]:1: error: instruction requires wavesize=32

v_dual_mul_dx9_zero_f32 v255, src_scc, v2 :: v_dual_min_i32 v7, -1, v3
// GFX1250: v_dual_mul_dx9_zero_f32 v255, src_scc, v2 :: v_dual_min_i32 v7, -1, v3 ; encoding: [0xfd,0x80,0x1d,0xcf,0xc1,0x00,0x02,0x00,0xff,0x03,0x00,0x07]
// W64-ERR: :[[@LINE-2]]:1: error: instruction requires wavesize=32

v_dual_mul_dx9_zero_f32 v255, 0.5, v3 :: v_dual_min_i32 v7, 0.5, v2
// GFX1250: v_dual_mul_dx9_zero_f32 v255, 0.5, v3 :: v_dual_min_i32 v7, 0.5, v2 ; encoding: [0xf0,0x80,0x1d,0xcf,0xf0,0x00,0x03,0x00,0xff,0x02,0x00,0x07]
// W64-ERR: :[[@LINE-2]]:1: error: instruction requires wavesize=32

v_dual_mul_dx9_zero_f32 v255, -1, v4 :: v_dual_min_i32 v7, src_scc, v5
// GFX1250: v_dual_mul_dx9_zero_f32 v255, -1, v4 :: v_dual_min_i32 v7, src_scc, v5 ; encoding: [0xc1,0x80,0x1d,0xcf,0xfd,0x00,0x04,0x00,0xff,0x05,0x00,0x07]
// W64-ERR: :[[@LINE-2]]:1: error: instruction requires wavesize=32

v_dual_mul_f32 v255, v4, v2 :: v_dual_min_i32 v7, v1, v3
// GFX1250: v_dual_mul_f32 v255, v4, v2 :: v_dual_min_i32 v7, v1, v3 ; encoding: [0x04,0x81,0x0d,0xcf,0x01,0x01,0x02,0x00,0xff,0x03,0x00,0x07]
// W64-ERR: :[[@LINE-2]]:1: error: instruction requires wavesize=32

v_dual_mul_f32 v255, v1, v2 :: v_dual_min_i32 v7, v255, v3
// GFX1250: v_dual_mul_f32 v255, v1, v2 :: v_dual_min_i32 v7, v255, v3 ; encoding: [0x01,0x81,0x0d,0xcf,0xff,0x01,0x02,0x00,0xff,0x03,0x00,0x07]
	;; [unrolled: 4-line block ×7, first 2 shown]
// W64-ERR: :[[@LINE-2]]:1: error: instruction requires wavesize=32

v_dual_mul_f32 v255, ttmp15, v2 :: v_dual_min_i32 v7, vcc_lo, v3
// GFX1250: v_dual_mul_f32 v255, ttmp15, v2 :: v_dual_min_i32 v7, vcc_lo, v3 ; encoding: [0x7b,0x80,0x0d,0xcf,0x6a,0x00,0x02,0x00,0xff,0x03,0x00,0x07]
// W64-ERR: :[[@LINE-2]]:1: error: instruction requires wavesize=32

v_dual_mul_f32 v255, exec_hi, v2 :: v_dual_min_i32 v7, vcc_hi, v3
// GFX1250: v_dual_mul_f32 v255, exec_hi, v2 :: v_dual_min_i32 v7, vcc_hi, v3 ; encoding: [0x7f,0x80,0x0d,0xcf,0x6b,0x00,0x02,0x00,0xff,0x03,0x00,0x07]
// W64-ERR: :[[@LINE-2]]:1: error: instruction requires wavesize=32

v_dual_mul_f32 v255, exec_lo, v2 :: v_dual_min_i32 v7, ttmp15, v3
// GFX1250: v_dual_mul_f32 v255, exec_lo, v2 :: v_dual_min_i32 v7, ttmp15, v3 ; encoding: [0x7e,0x80,0x0d,0xcf,0x7b,0x00,0x02,0x00,0xff,0x03,0x00,0x07]
// W64-ERR: :[[@LINE-2]]:1: error: instruction requires wavesize=32

v_dual_mul_f32 v255, m0, v2 :: v_dual_min_i32 v7, m0, v3
// GFX1250: v_dual_mul_f32 v255, m0, v2 :: v_dual_min_i32 v7, m0, v3 ; encoding: [0x7d,0x80,0x0d,0xcf,0x7d,0x00,0x02,0x00,0xff,0x03,0x00,0x07]
// W64-ERR: :[[@LINE-2]]:1: error: instruction requires wavesize=32

v_dual_mul_f32 v255, vcc_hi, v2 :: v_dual_min_i32 v7, exec_lo, v3
// GFX1250: v_dual_mul_f32 v255, vcc_hi, v2 :: v_dual_min_i32 v7, exec_lo, v3 ; encoding: [0x6b,0x80,0x0d,0xcf,0x7e,0x00,0x02,0x00,0xff,0x03,0x00,0x07]
// W64-ERR: :[[@LINE-2]]:1: error: instruction requires wavesize=32

v_dual_mul_f32 v255, vcc_lo, v2 :: v_dual_min_i32 v7, exec_hi, v3
// GFX1250: v_dual_mul_f32 v255, vcc_lo, v2 :: v_dual_min_i32 v7, exec_hi, v3 ; encoding: [0x6a,0x80,0x0d,0xcf,0x7f,0x00,0x02,0x00,0xff,0x03,0x00,0x07]
// W64-ERR: :[[@LINE-2]]:1: error: instruction requires wavesize=32

v_dual_mul_f32 v255, src_scc, v2 :: v_dual_min_i32 v7, -1, v3
// GFX1250: v_dual_mul_f32 v255, src_scc, v2 :: v_dual_min_i32 v7, -1, v3 ; encoding: [0xfd,0x80,0x0d,0xcf,0xc1,0x00,0x02,0x00,0xff,0x03,0x00,0x07]
// W64-ERR: :[[@LINE-2]]:1: error: instruction requires wavesize=32

v_dual_mul_f32 v255, 0.5, v3 :: v_dual_min_i32 v7, 0.5, v2
// GFX1250: v_dual_mul_f32 v255, 0.5, v3 :: v_dual_min_i32 v7, 0.5, v2 ; encoding: [0xf0,0x80,0x0d,0xcf,0xf0,0x00,0x03,0x00,0xff,0x02,0x00,0x07]
// W64-ERR: :[[@LINE-2]]:1: error: instruction requires wavesize=32

v_dual_mul_f32 v255, -1, v4 :: v_dual_min_i32 v7, src_scc, v5
// GFX1250: v_dual_mul_f32 v255, -1, v4 :: v_dual_min_i32 v7, src_scc, v5 ; encoding: [0xc1,0x80,0x0d,0xcf,0xfd,0x00,0x04,0x00,0xff,0x05,0x00,0x07]
// W64-ERR: :[[@LINE-2]]:1: error: instruction requires wavesize=32

v_dual_sub_f32 v255, v4, v2 :: v_dual_min_i32 v7, v1, v3
// GFX1250: v_dual_sub_f32 v255, v4, v2 :: v_dual_min_i32 v7, v1, v3 ; encoding: [0x04,0x81,0x15,0xcf,0x01,0x01,0x02,0x00,0xff,0x03,0x00,0x07]
// W64-ERR: :[[@LINE-2]]:1: error: instruction requires wavesize=32

v_dual_sub_f32 v255, v1, v2 :: v_dual_min_i32 v7, v255, v3
// GFX1250: v_dual_sub_f32 v255, v1, v2 :: v_dual_min_i32 v7, v255, v3 ; encoding: [0x01,0x81,0x15,0xcf,0xff,0x01,0x02,0x00,0xff,0x03,0x00,0x07]
	;; [unrolled: 4-line block ×7, first 2 shown]
// W64-ERR: :[[@LINE-2]]:1: error: instruction requires wavesize=32

v_dual_sub_f32 v255, ttmp15, v2 :: v_dual_min_i32 v7, vcc_lo, v3
// GFX1250: v_dual_sub_f32 v255, ttmp15, v2 :: v_dual_min_i32 v7, vcc_lo, v3 ; encoding: [0x7b,0x80,0x15,0xcf,0x6a,0x00,0x02,0x00,0xff,0x03,0x00,0x07]
// W64-ERR: :[[@LINE-2]]:1: error: instruction requires wavesize=32

v_dual_sub_f32 v255, exec_hi, v2 :: v_dual_min_i32 v7, vcc_hi, v3
// GFX1250: v_dual_sub_f32 v255, exec_hi, v2 :: v_dual_min_i32 v7, vcc_hi, v3 ; encoding: [0x7f,0x80,0x15,0xcf,0x6b,0x00,0x02,0x00,0xff,0x03,0x00,0x07]
// W64-ERR: :[[@LINE-2]]:1: error: instruction requires wavesize=32

v_dual_sub_f32 v255, exec_lo, v2 :: v_dual_min_i32 v7, ttmp15, v3
// GFX1250: v_dual_sub_f32 v255, exec_lo, v2 :: v_dual_min_i32 v7, ttmp15, v3 ; encoding: [0x7e,0x80,0x15,0xcf,0x7b,0x00,0x02,0x00,0xff,0x03,0x00,0x07]
// W64-ERR: :[[@LINE-2]]:1: error: instruction requires wavesize=32

v_dual_sub_f32 v255, m0, v2 :: v_dual_min_i32 v7, m0, v3
// GFX1250: v_dual_sub_f32 v255, m0, v2 :: v_dual_min_i32 v7, m0, v3 ; encoding: [0x7d,0x80,0x15,0xcf,0x7d,0x00,0x02,0x00,0xff,0x03,0x00,0x07]
// W64-ERR: :[[@LINE-2]]:1: error: instruction requires wavesize=32

v_dual_sub_f32 v255, vcc_hi, v2 :: v_dual_min_i32 v7, exec_lo, v3
// GFX1250: v_dual_sub_f32 v255, vcc_hi, v2 :: v_dual_min_i32 v7, exec_lo, v3 ; encoding: [0x6b,0x80,0x15,0xcf,0x7e,0x00,0x02,0x00,0xff,0x03,0x00,0x07]
// W64-ERR: :[[@LINE-2]]:1: error: instruction requires wavesize=32

v_dual_sub_f32 v255, vcc_lo, v2 :: v_dual_min_i32 v7, exec_hi, v3
// GFX1250: v_dual_sub_f32 v255, vcc_lo, v2 :: v_dual_min_i32 v7, exec_hi, v3 ; encoding: [0x6a,0x80,0x15,0xcf,0x7f,0x00,0x02,0x00,0xff,0x03,0x00,0x07]
// W64-ERR: :[[@LINE-2]]:1: error: instruction requires wavesize=32

v_dual_sub_f32 v255, src_scc, v2 :: v_dual_min_i32 v7, -1, v3
// GFX1250: v_dual_sub_f32 v255, src_scc, v2 :: v_dual_min_i32 v7, -1, v3 ; encoding: [0xfd,0x80,0x15,0xcf,0xc1,0x00,0x02,0x00,0xff,0x03,0x00,0x07]
// W64-ERR: :[[@LINE-2]]:1: error: instruction requires wavesize=32

v_dual_sub_f32 v255, 0.5, v3 :: v_dual_min_i32 v7, 0.5, v2
// GFX1250: v_dual_sub_f32 v255, 0.5, v3 :: v_dual_min_i32 v7, 0.5, v2 ; encoding: [0xf0,0x80,0x15,0xcf,0xf0,0x00,0x03,0x00,0xff,0x02,0x00,0x07]
// W64-ERR: :[[@LINE-2]]:1: error: instruction requires wavesize=32

v_dual_sub_f32 v255, -1, v4 :: v_dual_min_i32 v7, src_scc, v5
// GFX1250: v_dual_sub_f32 v255, -1, v4 :: v_dual_min_i32 v7, src_scc, v5 ; encoding: [0xc1,0x80,0x15,0xcf,0xfd,0x00,0x04,0x00,0xff,0x05,0x00,0x07]
// W64-ERR: :[[@LINE-2]]:1: error: instruction requires wavesize=32

v_dual_subrev_f32 v255, v4, v2 :: v_dual_min_i32 v7, v1, v3
// GFX1250: v_dual_subrev_f32 v255, v4, v2 :: v_dual_min_i32 v7, v1, v3 ; encoding: [0x04,0x81,0x19,0xcf,0x01,0x01,0x02,0x00,0xff,0x03,0x00,0x07]
// W64-ERR: :[[@LINE-2]]:1: error: instruction requires wavesize=32

v_dual_subrev_f32 v255, v1, v2 :: v_dual_min_i32 v7, v255, v3
// GFX1250: v_dual_subrev_f32 v255, v1, v2 :: v_dual_min_i32 v7, v255, v3 ; encoding: [0x01,0x81,0x19,0xcf,0xff,0x01,0x02,0x00,0xff,0x03,0x00,0x07]
	;; [unrolled: 4-line block ×7, first 2 shown]
// W64-ERR: :[[@LINE-2]]:1: error: instruction requires wavesize=32

v_dual_subrev_f32 v255, ttmp15, v2 :: v_dual_min_i32 v7, vcc_lo, v3
// GFX1250: v_dual_subrev_f32 v255, ttmp15, v2 :: v_dual_min_i32 v7, vcc_lo, v3 ; encoding: [0x7b,0x80,0x19,0xcf,0x6a,0x00,0x02,0x00,0xff,0x03,0x00,0x07]
// W64-ERR: :[[@LINE-2]]:1: error: instruction requires wavesize=32

v_dual_subrev_f32 v255, exec_hi, v2 :: v_dual_min_i32 v7, vcc_hi, v3
// GFX1250: v_dual_subrev_f32 v255, exec_hi, v2 :: v_dual_min_i32 v7, vcc_hi, v3 ; encoding: [0x7f,0x80,0x19,0xcf,0x6b,0x00,0x02,0x00,0xff,0x03,0x00,0x07]
// W64-ERR: :[[@LINE-2]]:1: error: instruction requires wavesize=32

v_dual_subrev_f32 v255, exec_lo, v2 :: v_dual_min_i32 v7, ttmp15, v3
// GFX1250: v_dual_subrev_f32 v255, exec_lo, v2 :: v_dual_min_i32 v7, ttmp15, v3 ; encoding: [0x7e,0x80,0x19,0xcf,0x7b,0x00,0x02,0x00,0xff,0x03,0x00,0x07]
// W64-ERR: :[[@LINE-2]]:1: error: instruction requires wavesize=32

v_dual_subrev_f32 v255, m0, v2 :: v_dual_min_i32 v7, m0, v3
// GFX1250: v_dual_subrev_f32 v255, m0, v2 :: v_dual_min_i32 v7, m0, v3 ; encoding: [0x7d,0x80,0x19,0xcf,0x7d,0x00,0x02,0x00,0xff,0x03,0x00,0x07]
// W64-ERR: :[[@LINE-2]]:1: error: instruction requires wavesize=32

v_dual_subrev_f32 v255, vcc_hi, v2 :: v_dual_min_i32 v7, exec_lo, v3
// GFX1250: v_dual_subrev_f32 v255, vcc_hi, v2 :: v_dual_min_i32 v7, exec_lo, v3 ; encoding: [0x6b,0x80,0x19,0xcf,0x7e,0x00,0x02,0x00,0xff,0x03,0x00,0x07]
// W64-ERR: :[[@LINE-2]]:1: error: instruction requires wavesize=32

v_dual_subrev_f32 v255, vcc_lo, v2 :: v_dual_min_i32 v7, exec_hi, v3
// GFX1250: v_dual_subrev_f32 v255, vcc_lo, v2 :: v_dual_min_i32 v7, exec_hi, v3 ; encoding: [0x6a,0x80,0x19,0xcf,0x7f,0x00,0x02,0x00,0xff,0x03,0x00,0x07]
// W64-ERR: :[[@LINE-2]]:1: error: instruction requires wavesize=32

v_dual_subrev_f32 v255, src_scc, v2 :: v_dual_min_i32 v7, -1, v3
// GFX1250: v_dual_subrev_f32 v255, src_scc, v2 :: v_dual_min_i32 v7, -1, v3 ; encoding: [0xfd,0x80,0x19,0xcf,0xc1,0x00,0x02,0x00,0xff,0x03,0x00,0x07]
// W64-ERR: :[[@LINE-2]]:1: error: instruction requires wavesize=32

v_dual_subrev_f32 v255, 0.5, v3 :: v_dual_min_i32 v7, 0.5, v2
// GFX1250: v_dual_subrev_f32 v255, 0.5, v3 :: v_dual_min_i32 v7, 0.5, v2 ; encoding: [0xf0,0x80,0x19,0xcf,0xf0,0x00,0x03,0x00,0xff,0x02,0x00,0x07]
// W64-ERR: :[[@LINE-2]]:1: error: instruction requires wavesize=32

v_dual_subrev_f32 v255, -1, v4 :: v_dual_min_i32 v7, src_scc, v5
// GFX1250: v_dual_subrev_f32 v255, -1, v4 :: v_dual_min_i32 v7, src_scc, v5 ; encoding: [0xc1,0x80,0x19,0xcf,0xfd,0x00,0x04,0x00,0xff,0x05,0x00,0x07]
// W64-ERR: :[[@LINE-2]]:1: error: instruction requires wavesize=32

v_dual_add_f32 v255, v4, v2 :: v_dual_sub_nc_u32 v7, v1, v3
// GFX1250: v_dual_add_f32 v255, v4, v2 :: v_dual_sub_nc_u32 v7, v1, v3 ; encoding: [0x04,0x41,0x11,0xcf,0x01,0x01,0x02,0x00,0xff,0x03,0x00,0x07]
// W64-ERR: :[[@LINE-2]]:1: error: instruction requires wavesize=32

v_dual_add_f32 v255, v1, v2 :: v_dual_sub_nc_u32 v7, v255, v3
// GFX1250: v_dual_add_f32 v255, v1, v2 :: v_dual_sub_nc_u32 v7, v255, v3 ; encoding: [0x01,0x41,0x11,0xcf,0xff,0x01,0x02,0x00,0xff,0x03,0x00,0x07]
	;; [unrolled: 4-line block ×7, first 2 shown]
// W64-ERR: :[[@LINE-2]]:1: error: instruction requires wavesize=32

v_dual_add_f32 v255, ttmp15, v2 :: v_dual_sub_nc_u32 v7, vcc_lo, v3
// GFX1250: v_dual_add_f32 v255, ttmp15, v2 :: v_dual_sub_nc_u32 v7, vcc_lo, v3 ; encoding: [0x7b,0x40,0x11,0xcf,0x6a,0x00,0x02,0x00,0xff,0x03,0x00,0x07]
// W64-ERR: :[[@LINE-2]]:1: error: instruction requires wavesize=32

v_dual_add_f32 v255, exec_hi, v2 :: v_dual_sub_nc_u32 v7, vcc_hi, v3
// GFX1250: v_dual_add_f32 v255, exec_hi, v2 :: v_dual_sub_nc_u32 v7, vcc_hi, v3 ; encoding: [0x7f,0x40,0x11,0xcf,0x6b,0x00,0x02,0x00,0xff,0x03,0x00,0x07]
// W64-ERR: :[[@LINE-2]]:1: error: instruction requires wavesize=32

v_dual_add_f32 v255, exec_lo, v2 :: v_dual_sub_nc_u32 v7, ttmp15, v3
// GFX1250: v_dual_add_f32 v255, exec_lo, v2 :: v_dual_sub_nc_u32 v7, ttmp15, v3 ; encoding: [0x7e,0x40,0x11,0xcf,0x7b,0x00,0x02,0x00,0xff,0x03,0x00,0x07]
// W64-ERR: :[[@LINE-2]]:1: error: instruction requires wavesize=32

v_dual_add_f32 v255, m0, v2 :: v_dual_sub_nc_u32 v7, m0, v3
// GFX1250: v_dual_add_f32 v255, m0, v2 :: v_dual_sub_nc_u32 v7, m0, v3 ; encoding: [0x7d,0x40,0x11,0xcf,0x7d,0x00,0x02,0x00,0xff,0x03,0x00,0x07]
// W64-ERR: :[[@LINE-2]]:1: error: instruction requires wavesize=32

v_dual_add_f32 v255, vcc_hi, v2 :: v_dual_sub_nc_u32 v7, exec_lo, v3
// GFX1250: v_dual_add_f32 v255, vcc_hi, v2 :: v_dual_sub_nc_u32 v7, exec_lo, v3 ; encoding: [0x6b,0x40,0x11,0xcf,0x7e,0x00,0x02,0x00,0xff,0x03,0x00,0x07]
// W64-ERR: :[[@LINE-2]]:1: error: instruction requires wavesize=32

v_dual_add_f32 v255, vcc_lo, v2 :: v_dual_sub_nc_u32 v7, exec_hi, v3
// GFX1250: v_dual_add_f32 v255, vcc_lo, v2 :: v_dual_sub_nc_u32 v7, exec_hi, v3 ; encoding: [0x6a,0x40,0x11,0xcf,0x7f,0x00,0x02,0x00,0xff,0x03,0x00,0x07]
// W64-ERR: :[[@LINE-2]]:1: error: instruction requires wavesize=32

v_dual_add_f32 v255, src_scc, v2 :: v_dual_sub_nc_u32 v7, -1, v3
// GFX1250: v_dual_add_f32 v255, src_scc, v2 :: v_dual_sub_nc_u32 v7, -1, v3 ; encoding: [0xfd,0x40,0x11,0xcf,0xc1,0x00,0x02,0x00,0xff,0x03,0x00,0x07]
// W64-ERR: :[[@LINE-2]]:1: error: instruction requires wavesize=32

v_dual_add_f32 v255, 0.5, v3 :: v_dual_sub_nc_u32 v7, 0.5, v2
// GFX1250: v_dual_add_f32 v255, 0.5, v3 :: v_dual_sub_nc_u32 v7, 0.5, v2 ; encoding: [0xf0,0x40,0x11,0xcf,0xf0,0x00,0x03,0x00,0xff,0x02,0x00,0x07]
// W64-ERR: :[[@LINE-2]]:1: error: instruction requires wavesize=32

v_dual_add_f32 v255, -1, v4 :: v_dual_sub_nc_u32 v7, src_scc, v5
// GFX1250: v_dual_add_f32 v255, -1, v4 :: v_dual_sub_nc_u32 v7, src_scc, v5 ; encoding: [0xc1,0x40,0x11,0xcf,0xfd,0x00,0x04,0x00,0xff,0x05,0x00,0x07]
// W64-ERR: :[[@LINE-2]]:1: error: instruction requires wavesize=32

v_dual_cndmask_b32 v255, v4, v2, vcc_lo :: v_dual_sub_nc_u32 v7, v1, v3
// GFX1250: v_dual_cndmask_b32 v255, v4, v2, vcc_lo :: v_dual_sub_nc_u32 v7, v1, v3 ; encoding: [0x04,0x41,0x25,0xcf,0x01,0x01,0x02,0x6a,0xff,0x03,0x00,0x07]
// W64-ERR: :[[@LINE-2]]:1: error: instruction requires wavesize=32

v_dual_cndmask_b32 v255, v1, v2, vcc_lo :: v_dual_sub_nc_u32 v7, v255, v3
// GFX1250: v_dual_cndmask_b32 v255, v1, v2, vcc_lo :: v_dual_sub_nc_u32 v7, v255, v3 ; encoding: [0x01,0x41,0x25,0xcf,0xff,0x01,0x02,0x6a,0xff,0x03,0x00,0x07]
	;; [unrolled: 4-line block ×7, first 2 shown]
// W64-ERR: :[[@LINE-2]]:1: error: instruction requires wavesize=32

v_dual_cndmask_b32 v255, ttmp15, v2, vcc_lo :: v_dual_sub_nc_u32 v7, ttmp15, v3
// GFX1250: v_dual_cndmask_b32 v255, ttmp15, v2, vcc_lo :: v_dual_sub_nc_u32 v7, ttmp15, v3 ; encoding: [0x7b,0x40,0x25,0xcf,0x7b,0x00,0x02,0x6a,0xff,0x03,0x00,0x07]
// W64-ERR: :[[@LINE-2]]:1: error: instruction requires wavesize=32

v_dual_cndmask_b32 v255, exec_hi, v2, vcc_lo :: v_dual_sub_nc_u32 v7, exec_hi, v3
// GFX1250: v_dual_cndmask_b32 v255, exec_hi, v2, vcc_lo :: v_dual_sub_nc_u32 v7, exec_hi, v3 ; encoding: [0x7f,0x40,0x25,0xcf,0x7f,0x00,0x02,0x6a,0xff,0x03,0x00,0x07]
// W64-ERR: :[[@LINE-2]]:1: error: instruction requires wavesize=32

v_dual_cndmask_b32 v255, exec_lo, v2, vcc_lo :: v_dual_sub_nc_u32 v7, exec_lo, v3
// GFX1250: v_dual_cndmask_b32 v255, exec_lo, v2, vcc_lo :: v_dual_sub_nc_u32 v7, exec_lo, v3 ; encoding: [0x7e,0x40,0x25,0xcf,0x7e,0x00,0x02,0x6a,0xff,0x03,0x00,0x07]
// W64-ERR: :[[@LINE-2]]:1: error: instruction requires wavesize=32

v_dual_cndmask_b32 v255, m0, v2, vcc_lo :: v_dual_sub_nc_u32 v7, m0, v3
// GFX1250: v_dual_cndmask_b32 v255, m0, v2, vcc_lo :: v_dual_sub_nc_u32 v7, m0, v3 ; encoding: [0x7d,0x40,0x25,0xcf,0x7d,0x00,0x02,0x6a,0xff,0x03,0x00,0x07]
// W64-ERR: :[[@LINE-2]]:1: error: instruction requires wavesize=32

v_dual_cndmask_b32 v255, vcc_hi, v2, vcc_lo :: v_dual_sub_nc_u32 v7, vcc_hi, v3
// GFX1250: v_dual_cndmask_b32 v255, vcc_hi, v2, vcc_lo :: v_dual_sub_nc_u32 v7, vcc_hi, v3 ; encoding: [0x6b,0x40,0x25,0xcf,0x6b,0x00,0x02,0x6a,0xff,0x03,0x00,0x07]
// W64-ERR: :[[@LINE-2]]:1: error: instruction requires wavesize=32

v_dual_cndmask_b32 v255, vcc_lo, v2, vcc_lo :: v_dual_sub_nc_u32 v7, vcc_lo, v3
// GFX1250: v_dual_cndmask_b32 v255, vcc_lo, v2, vcc_lo :: v_dual_sub_nc_u32 v7, vcc_lo, v3 ; encoding: [0x6a,0x40,0x25,0xcf,0x6a,0x00,0x02,0x6a,0xff,0x03,0x00,0x07]
// W64-ERR: :[[@LINE-2]]:1: error: instruction requires wavesize=32

v_dual_cndmask_b32 v255, src_scc, v2, vcc_lo :: v_dual_sub_nc_u32 v7, -1, v3
// GFX1250: v_dual_cndmask_b32 v255, src_scc, v2, vcc_lo :: v_dual_sub_nc_u32 v7, -1, v3 ; encoding: [0xfd,0x40,0x25,0xcf,0xc1,0x00,0x02,0x6a,0xff,0x03,0x00,0x07]
// W64-ERR: :[[@LINE-2]]:1: error: instruction requires wavesize=32

v_dual_cndmask_b32 v255, 0.5, v3, vcc_lo :: v_dual_sub_nc_u32 v7, 0.5, v2
// GFX1250: v_dual_cndmask_b32 v255, 0.5, v3, vcc_lo :: v_dual_sub_nc_u32 v7, 0.5, v2 ; encoding: [0xf0,0x40,0x25,0xcf,0xf0,0x00,0x03,0x6a,0xff,0x02,0x00,0x07]
// W64-ERR: :[[@LINE-2]]:1: error: instruction requires wavesize=32

v_dual_cndmask_b32 v255, -1, v4, vcc_lo :: v_dual_sub_nc_u32 v7, src_scc, v5
// GFX1250: v_dual_cndmask_b32 v255, -1, v4, vcc_lo :: v_dual_sub_nc_u32 v7, src_scc, v5 ; encoding: [0xc1,0x40,0x25,0xcf,0xfd,0x00,0x04,0x6a,0xff,0x05,0x00,0x07]
// W64-ERR: :[[@LINE-2]]:1: error: instruction requires wavesize=32

v_dual_fmac_f32 v255, v4, v2 :: v_dual_sub_nc_u32 v7, v1, v3
// GFX1250: v_dual_fmac_f32 v255, v4, v2 :: v_dual_sub_nc_u32 v7, v1, v3 ; encoding: [0x04,0x41,0x01,0xcf,0x01,0x01,0x02,0x00,0xff,0x03,0x00,0x07]
// W64-ERR: :[[@LINE-2]]:1: error: instruction requires wavesize=32

v_dual_fmac_f32 v255, v1, v2 :: v_dual_sub_nc_u32 v7, v255, v3
// GFX1250: v_dual_fmac_f32 v255, v1, v2 :: v_dual_sub_nc_u32 v7, v255, v3 ; encoding: [0x01,0x41,0x01,0xcf,0xff,0x01,0x02,0x00,0xff,0x03,0x00,0x07]
	;; [unrolled: 4-line block ×7, first 2 shown]
// W64-ERR: :[[@LINE-2]]:1: error: instruction requires wavesize=32

v_dual_fmac_f32 v255, ttmp15, v2 :: v_dual_sub_nc_u32 v7, vcc_lo, v3
// GFX1250: v_dual_fmac_f32 v255, ttmp15, v2 :: v_dual_sub_nc_u32 v7, vcc_lo, v3 ; encoding: [0x7b,0x40,0x01,0xcf,0x6a,0x00,0x02,0x00,0xff,0x03,0x00,0x07]
// W64-ERR: :[[@LINE-2]]:1: error: instruction requires wavesize=32

v_dual_fmac_f32 v255, exec_hi, v2 :: v_dual_sub_nc_u32 v7, vcc_hi, v3
// GFX1250: v_dual_fmac_f32 v255, exec_hi, v2 :: v_dual_sub_nc_u32 v7, vcc_hi, v3 ; encoding: [0x7f,0x40,0x01,0xcf,0x6b,0x00,0x02,0x00,0xff,0x03,0x00,0x07]
// W64-ERR: :[[@LINE-2]]:1: error: instruction requires wavesize=32

v_dual_fmac_f32 v255, exec_lo, v2 :: v_dual_sub_nc_u32 v7, ttmp15, v3
// GFX1250: v_dual_fmac_f32 v255, exec_lo, v2 :: v_dual_sub_nc_u32 v7, ttmp15, v3 ; encoding: [0x7e,0x40,0x01,0xcf,0x7b,0x00,0x02,0x00,0xff,0x03,0x00,0x07]
// W64-ERR: :[[@LINE-2]]:1: error: instruction requires wavesize=32

v_dual_fmac_f32 v255, m0, v2 :: v_dual_sub_nc_u32 v7, m0, v3
// GFX1250: v_dual_fmac_f32 v255, m0, v2 :: v_dual_sub_nc_u32 v7, m0, v3 ; encoding: [0x7d,0x40,0x01,0xcf,0x7d,0x00,0x02,0x00,0xff,0x03,0x00,0x07]
// W64-ERR: :[[@LINE-2]]:1: error: instruction requires wavesize=32

v_dual_fmac_f32 v255, vcc_hi, v2 :: v_dual_sub_nc_u32 v7, exec_lo, v3
// GFX1250: v_dual_fmac_f32 v255, vcc_hi, v2 :: v_dual_sub_nc_u32 v7, exec_lo, v3 ; encoding: [0x6b,0x40,0x01,0xcf,0x7e,0x00,0x02,0x00,0xff,0x03,0x00,0x07]
// W64-ERR: :[[@LINE-2]]:1: error: instruction requires wavesize=32

v_dual_fmac_f32 v255, vcc_lo, v2 :: v_dual_sub_nc_u32 v7, exec_hi, v3
// GFX1250: v_dual_fmac_f32 v255, vcc_lo, v2 :: v_dual_sub_nc_u32 v7, exec_hi, v3 ; encoding: [0x6a,0x40,0x01,0xcf,0x7f,0x00,0x02,0x00,0xff,0x03,0x00,0x07]
// W64-ERR: :[[@LINE-2]]:1: error: instruction requires wavesize=32

v_dual_fmac_f32 v255, src_scc, v2 :: v_dual_sub_nc_u32 v7, -1, v3
// GFX1250: v_dual_fmac_f32 v255, src_scc, v2 :: v_dual_sub_nc_u32 v7, -1, v3 ; encoding: [0xfd,0x40,0x01,0xcf,0xc1,0x00,0x02,0x00,0xff,0x03,0x00,0x07]
// W64-ERR: :[[@LINE-2]]:1: error: instruction requires wavesize=32

v_dual_fmac_f32 v255, 0.5, v3 :: v_dual_sub_nc_u32 v7, 0.5, v2
// GFX1250: v_dual_fmac_f32 v255, 0.5, v3 :: v_dual_sub_nc_u32 v7, 0.5, v2 ; encoding: [0xf0,0x40,0x01,0xcf,0xf0,0x00,0x03,0x00,0xff,0x02,0x00,0x07]
// W64-ERR: :[[@LINE-2]]:1: error: instruction requires wavesize=32

v_dual_fmac_f32 v255, -1, v4 :: v_dual_sub_nc_u32 v7, src_scc, v5
// GFX1250: v_dual_fmac_f32 v255, -1, v4 :: v_dual_sub_nc_u32 v7, src_scc, v5 ; encoding: [0xc1,0x40,0x01,0xcf,0xfd,0x00,0x04,0x00,0xff,0x05,0x00,0x07]
// W64-ERR: :[[@LINE-2]]:1: error: instruction requires wavesize=32

v_dual_max_num_f32 v255, v4, v2 :: v_dual_sub_nc_u32 v7, v1, v3
// GFX1250: v_dual_max_num_f32 v255, v4, v2 :: v_dual_sub_nc_u32 v7, v1, v3 ; encoding: [0x04,0x41,0x29,0xcf,0x01,0x01,0x02,0x00,0xff,0x03,0x00,0x07]
// W64-ERR: :[[@LINE-2]]:1: error: instruction requires wavesize=32

v_dual_max_num_f32 v255, v1, v2 :: v_dual_sub_nc_u32 v7, v255, v3
// GFX1250: v_dual_max_num_f32 v255, v1, v2 :: v_dual_sub_nc_u32 v7, v255, v3 ; encoding: [0x01,0x41,0x29,0xcf,0xff,0x01,0x02,0x00,0xff,0x03,0x00,0x07]
	;; [unrolled: 4-line block ×7, first 2 shown]
// W64-ERR: :[[@LINE-2]]:1: error: instruction requires wavesize=32

v_dual_max_num_f32 v255, ttmp15, v2 :: v_dual_sub_nc_u32 v7, vcc_lo, v3
// GFX1250: v_dual_max_num_f32 v255, ttmp15, v2 :: v_dual_sub_nc_u32 v7, vcc_lo, v3 ; encoding: [0x7b,0x40,0x29,0xcf,0x6a,0x00,0x02,0x00,0xff,0x03,0x00,0x07]
// W64-ERR: :[[@LINE-2]]:1: error: instruction requires wavesize=32

v_dual_max_num_f32 v255, exec_hi, v2 :: v_dual_sub_nc_u32 v7, vcc_hi, v3
// GFX1250: v_dual_max_num_f32 v255, exec_hi, v2 :: v_dual_sub_nc_u32 v7, vcc_hi, v3 ; encoding: [0x7f,0x40,0x29,0xcf,0x6b,0x00,0x02,0x00,0xff,0x03,0x00,0x07]
// W64-ERR: :[[@LINE-2]]:1: error: instruction requires wavesize=32

v_dual_max_num_f32 v255, exec_lo, v2 :: v_dual_sub_nc_u32 v7, ttmp15, v3
// GFX1250: v_dual_max_num_f32 v255, exec_lo, v2 :: v_dual_sub_nc_u32 v7, ttmp15, v3 ; encoding: [0x7e,0x40,0x29,0xcf,0x7b,0x00,0x02,0x00,0xff,0x03,0x00,0x07]
// W64-ERR: :[[@LINE-2]]:1: error: instruction requires wavesize=32

v_dual_max_num_f32 v255, m0, v2 :: v_dual_sub_nc_u32 v7, m0, v3
// GFX1250: v_dual_max_num_f32 v255, m0, v2 :: v_dual_sub_nc_u32 v7, m0, v3 ; encoding: [0x7d,0x40,0x29,0xcf,0x7d,0x00,0x02,0x00,0xff,0x03,0x00,0x07]
// W64-ERR: :[[@LINE-2]]:1: error: instruction requires wavesize=32

v_dual_max_num_f32 v255, vcc_hi, v2 :: v_dual_sub_nc_u32 v7, exec_lo, v3
// GFX1250: v_dual_max_num_f32 v255, vcc_hi, v2 :: v_dual_sub_nc_u32 v7, exec_lo, v3 ; encoding: [0x6b,0x40,0x29,0xcf,0x7e,0x00,0x02,0x00,0xff,0x03,0x00,0x07]
// W64-ERR: :[[@LINE-2]]:1: error: instruction requires wavesize=32

v_dual_max_num_f32 v255, vcc_lo, v2 :: v_dual_sub_nc_u32 v7, exec_hi, v3
// GFX1250: v_dual_max_num_f32 v255, vcc_lo, v2 :: v_dual_sub_nc_u32 v7, exec_hi, v3 ; encoding: [0x6a,0x40,0x29,0xcf,0x7f,0x00,0x02,0x00,0xff,0x03,0x00,0x07]
// W64-ERR: :[[@LINE-2]]:1: error: instruction requires wavesize=32

v_dual_max_num_f32 v255, src_scc, v2 :: v_dual_sub_nc_u32 v7, -1, v3
// GFX1250: v_dual_max_num_f32 v255, src_scc, v2 :: v_dual_sub_nc_u32 v7, -1, v3 ; encoding: [0xfd,0x40,0x29,0xcf,0xc1,0x00,0x02,0x00,0xff,0x03,0x00,0x07]
// W64-ERR: :[[@LINE-2]]:1: error: instruction requires wavesize=32

v_dual_max_num_f32 v255, 0.5, v3 :: v_dual_sub_nc_u32 v7, 0.5, v2
// GFX1250: v_dual_max_num_f32 v255, 0.5, v3 :: v_dual_sub_nc_u32 v7, 0.5, v2 ; encoding: [0xf0,0x40,0x29,0xcf,0xf0,0x00,0x03,0x00,0xff,0x02,0x00,0x07]
// W64-ERR: :[[@LINE-2]]:1: error: instruction requires wavesize=32

v_dual_max_num_f32 v255, -1, v4 :: v_dual_sub_nc_u32 v7, src_scc, v5
// GFX1250: v_dual_max_num_f32 v255, -1, v4 :: v_dual_sub_nc_u32 v7, src_scc, v5 ; encoding: [0xc1,0x40,0x29,0xcf,0xfd,0x00,0x04,0x00,0xff,0x05,0x00,0x07]
// W64-ERR: :[[@LINE-2]]:1: error: instruction requires wavesize=32

v_dual_min_num_f32 v255, v4, v2 :: v_dual_sub_nc_u32 v7, v1, v3
// GFX1250: v_dual_min_num_f32 v255, v4, v2 :: v_dual_sub_nc_u32 v7, v1, v3 ; encoding: [0x04,0x41,0x2d,0xcf,0x01,0x01,0x02,0x00,0xff,0x03,0x00,0x07]
// W64-ERR: :[[@LINE-2]]:1: error: instruction requires wavesize=32

v_dual_min_num_f32 v255, v1, v2 :: v_dual_sub_nc_u32 v7, v255, v3
// GFX1250: v_dual_min_num_f32 v255, v1, v2 :: v_dual_sub_nc_u32 v7, v255, v3 ; encoding: [0x01,0x41,0x2d,0xcf,0xff,0x01,0x02,0x00,0xff,0x03,0x00,0x07]
// W64-ERR: :[[@LINE-2]]:1: error: instruction requires wavesize=32

v_dual_min_num_f32 v255, v255, v2 :: v_dual_sub_nc_u32 v7, v2, v3
// GFX1250: v_dual_min_num_f32 v255, v255, v2 :: v_dual_sub_nc_u32 v7, v2, v3 ; encoding: [0xff,0x41,0x2d,0xcf,0x02,0x01,0x02,0x00,0xff,0x03,0x00,0x07]
// W64-ERR: :[[@LINE-2]]:1: error: instruction requires wavesize=32

v_dual_min_num_f32 v255, v2, v2 :: v_dual_sub_nc_u32 v7, v3, v3
// GFX1250: v_dual_min_num_f32 v255, v2, v2 :: v_dual_sub_nc_u32 v7, v3, v3 ; encoding: [0x02,0x41,0x2d,0xcf,0x03,0x01,0x02,0x00,0xff,0x03,0x00,0x07]
// W64-ERR: :[[@LINE-2]]:1: error: instruction requires wavesize=32

v_dual_min_num_f32 v255, v3, v2 :: v_dual_sub_nc_u32 v7, v4, v3
// GFX1250: v_dual_min_num_f32 v255, v3, v2 :: v_dual_sub_nc_u32 v7, v4, v3 ; encoding: [0x03,0x41,0x2d,0xcf,0x04,0x01,0x02,0x00,0xff,0x03,0x00,0x07]
// W64-ERR: :[[@LINE-2]]:1: error: instruction requires wavesize=32

v_dual_min_num_f32 v255, s105, v2 :: v_dual_sub_nc_u32 v7, s1, v3
// GFX1250: v_dual_min_num_f32 v255, s105, v2 :: v_dual_sub_nc_u32 v7, s1, v3 ; encoding: [0x69,0x40,0x2d,0xcf,0x01,0x00,0x02,0x00,0xff,0x03,0x00,0x07]
// W64-ERR: :[[@LINE-2]]:1: error: instruction requires wavesize=32

v_dual_min_num_f32 v255, s1, v2 :: v_dual_sub_nc_u32 v7, s105, v3
// GFX1250: v_dual_min_num_f32 v255, s1, v2 :: v_dual_sub_nc_u32 v7, s105, v3 ; encoding: [0x01,0x40,0x2d,0xcf,0x69,0x00,0x02,0x00,0xff,0x03,0x00,0x07]
// W64-ERR: :[[@LINE-2]]:1: error: instruction requires wavesize=32

v_dual_min_num_f32 v255, ttmp15, v2 :: v_dual_sub_nc_u32 v7, vcc_lo, v3
// GFX1250: v_dual_min_num_f32 v255, ttmp15, v2 :: v_dual_sub_nc_u32 v7, vcc_lo, v3 ; encoding: [0x7b,0x40,0x2d,0xcf,0x6a,0x00,0x02,0x00,0xff,0x03,0x00,0x07]
// W64-ERR: :[[@LINE-2]]:1: error: instruction requires wavesize=32

v_dual_min_num_f32 v255, exec_hi, v2 :: v_dual_sub_nc_u32 v7, vcc_hi, v3
// GFX1250: v_dual_min_num_f32 v255, exec_hi, v2 :: v_dual_sub_nc_u32 v7, vcc_hi, v3 ; encoding: [0x7f,0x40,0x2d,0xcf,0x6b,0x00,0x02,0x00,0xff,0x03,0x00,0x07]
// W64-ERR: :[[@LINE-2]]:1: error: instruction requires wavesize=32

v_dual_min_num_f32 v255, exec_lo, v2 :: v_dual_sub_nc_u32 v7, ttmp15, v3
// GFX1250: v_dual_min_num_f32 v255, exec_lo, v2 :: v_dual_sub_nc_u32 v7, ttmp15, v3 ; encoding: [0x7e,0x40,0x2d,0xcf,0x7b,0x00,0x02,0x00,0xff,0x03,0x00,0x07]
// W64-ERR: :[[@LINE-2]]:1: error: instruction requires wavesize=32

v_dual_min_num_f32 v255, m0, v2 :: v_dual_sub_nc_u32 v7, m0, v3
// GFX1250: v_dual_min_num_f32 v255, m0, v2 :: v_dual_sub_nc_u32 v7, m0, v3 ; encoding: [0x7d,0x40,0x2d,0xcf,0x7d,0x00,0x02,0x00,0xff,0x03,0x00,0x07]
// W64-ERR: :[[@LINE-2]]:1: error: instruction requires wavesize=32

v_dual_min_num_f32 v255, vcc_hi, v2 :: v_dual_sub_nc_u32 v7, exec_lo, v3
// GFX1250: v_dual_min_num_f32 v255, vcc_hi, v2 :: v_dual_sub_nc_u32 v7, exec_lo, v3 ; encoding: [0x6b,0x40,0x2d,0xcf,0x7e,0x00,0x02,0x00,0xff,0x03,0x00,0x07]
// W64-ERR: :[[@LINE-2]]:1: error: instruction requires wavesize=32

v_dual_min_num_f32 v255, vcc_lo, v2 :: v_dual_sub_nc_u32 v7, exec_hi, v3
// GFX1250: v_dual_min_num_f32 v255, vcc_lo, v2 :: v_dual_sub_nc_u32 v7, exec_hi, v3 ; encoding: [0x6a,0x40,0x2d,0xcf,0x7f,0x00,0x02,0x00,0xff,0x03,0x00,0x07]
// W64-ERR: :[[@LINE-2]]:1: error: instruction requires wavesize=32

v_dual_min_num_f32 v255, src_scc, v2 :: v_dual_sub_nc_u32 v7, -1, v3
// GFX1250: v_dual_min_num_f32 v255, src_scc, v2 :: v_dual_sub_nc_u32 v7, -1, v3 ; encoding: [0xfd,0x40,0x2d,0xcf,0xc1,0x00,0x02,0x00,0xff,0x03,0x00,0x07]
// W64-ERR: :[[@LINE-2]]:1: error: instruction requires wavesize=32

v_dual_min_num_f32 v255, 0.5, v3 :: v_dual_sub_nc_u32 v7, 0.5, v2
// GFX1250: v_dual_min_num_f32 v255, 0.5, v3 :: v_dual_sub_nc_u32 v7, 0.5, v2 ; encoding: [0xf0,0x40,0x2d,0xcf,0xf0,0x00,0x03,0x00,0xff,0x02,0x00,0x07]
// W64-ERR: :[[@LINE-2]]:1: error: instruction requires wavesize=32

v_dual_min_num_f32 v255, -1, v4 :: v_dual_sub_nc_u32 v7, src_scc, v5
// GFX1250: v_dual_min_num_f32 v255, -1, v4 :: v_dual_sub_nc_u32 v7, src_scc, v5 ; encoding: [0xc1,0x40,0x2d,0xcf,0xfd,0x00,0x04,0x00,0xff,0x05,0x00,0x07]
// W64-ERR: :[[@LINE-2]]:1: error: instruction requires wavesize=32

v_dual_mov_b32 v255, v4 :: v_dual_sub_nc_u32 v7, v1, v255
// GFX1250: v_dual_mov_b32 v255, v4 :: v_dual_sub_nc_u32 v7, v1, v255 ; encoding: [0x04,0x41,0x21,0xcf,0x01,0x01,0x00,0x00,0xff,0xff,0x00,0x07]
// W64-ERR: :[[@LINE-2]]:1: error: instruction requires wavesize=32

v_dual_mov_b32 v255, v1 :: v_dual_sub_nc_u32 v7, v255, v255
// GFX1250: v_dual_mov_b32 v255, v1 :: v_dual_sub_nc_u32 v7, v255, v255 ; encoding: [0x01,0x41,0x21,0xcf,0xff,0x01,0x00,0x00,0xff,0xff,0x00,0x07]
	;; [unrolled: 4-line block ×7, first 2 shown]
// W64-ERR: :[[@LINE-2]]:1: error: instruction requires wavesize=32

v_dual_mov_b32 v255, ttmp15 :: v_dual_sub_nc_u32 v7, vcc_lo, v255
// GFX1250: v_dual_mov_b32 v255, ttmp15 :: v_dual_sub_nc_u32 v7, vcc_lo, v255 ; encoding: [0x7b,0x40,0x21,0xcf,0x6a,0x00,0x00,0x00,0xff,0xff,0x00,0x07]
// W64-ERR: :[[@LINE-2]]:1: error: instruction requires wavesize=32

v_dual_mov_b32 v255, exec_hi :: v_dual_sub_nc_u32 v7, vcc_hi, v255
// GFX1250: v_dual_mov_b32 v255, exec_hi :: v_dual_sub_nc_u32 v7, vcc_hi, v255 ; encoding: [0x7f,0x40,0x21,0xcf,0x6b,0x00,0x00,0x00,0xff,0xff,0x00,0x07]
// W64-ERR: :[[@LINE-2]]:1: error: instruction requires wavesize=32

v_dual_mov_b32 v255, exec_lo :: v_dual_sub_nc_u32 v7, ttmp15, v255
// GFX1250: v_dual_mov_b32 v255, exec_lo :: v_dual_sub_nc_u32 v7, ttmp15, v255 ; encoding: [0x7e,0x40,0x21,0xcf,0x7b,0x00,0x00,0x00,0xff,0xff,0x00,0x07]
// W64-ERR: :[[@LINE-2]]:1: error: instruction requires wavesize=32

v_dual_mov_b32 v255, m0 :: v_dual_sub_nc_u32 v7, m0, v255
// GFX1250: v_dual_mov_b32 v255, m0 :: v_dual_sub_nc_u32 v7, m0, v255 ; encoding: [0x7d,0x40,0x21,0xcf,0x7d,0x00,0x00,0x00,0xff,0xff,0x00,0x07]
// W64-ERR: :[[@LINE-2]]:1: error: instruction requires wavesize=32

v_dual_mov_b32 v255, vcc_hi :: v_dual_sub_nc_u32 v7, exec_lo, v255
// GFX1250: v_dual_mov_b32 v255, vcc_hi :: v_dual_sub_nc_u32 v7, exec_lo, v255 ; encoding: [0x6b,0x40,0x21,0xcf,0x7e,0x00,0x00,0x00,0xff,0xff,0x00,0x07]
// W64-ERR: :[[@LINE-2]]:1: error: instruction requires wavesize=32

v_dual_mov_b32 v255, vcc_lo :: v_dual_sub_nc_u32 v7, exec_hi, v255
// GFX1250: v_dual_mov_b32 v255, vcc_lo :: v_dual_sub_nc_u32 v7, exec_hi, v255 ; encoding: [0x6a,0x40,0x21,0xcf,0x7f,0x00,0x00,0x00,0xff,0xff,0x00,0x07]
// W64-ERR: :[[@LINE-2]]:1: error: instruction requires wavesize=32

v_dual_mov_b32 v255, src_scc :: v_dual_sub_nc_u32 v7, -1, v255
// GFX1250: v_dual_mov_b32 v255, src_scc :: v_dual_sub_nc_u32 v7, -1, v255 ; encoding: [0xfd,0x40,0x21,0xcf,0xc1,0x00,0x00,0x00,0xff,0xff,0x00,0x07]
// W64-ERR: :[[@LINE-2]]:1: error: instruction requires wavesize=32

v_dual_mov_b32 v255, 0.5 :: v_dual_sub_nc_u32 v7, 0.5, v3
// GFX1250: v_dual_mov_b32 v255, 0.5 :: v_dual_sub_nc_u32 v7, 0.5, v3 ; encoding: [0xf0,0x40,0x21,0xcf,0xf0,0x00,0x00,0x00,0xff,0x03,0x00,0x07]
// W64-ERR: :[[@LINE-2]]:1: error: instruction requires wavesize=32

v_dual_mov_b32 v255, -1 :: v_dual_sub_nc_u32 v7, src_scc, v4
// GFX1250: v_dual_mov_b32 v255, -1 :: v_dual_sub_nc_u32 v7, src_scc, v4 ; encoding: [0xc1,0x40,0x21,0xcf,0xfd,0x00,0x00,0x00,0xff,0x04,0x00,0x07]
// W64-ERR: :[[@LINE-2]]:1: error: instruction requires wavesize=32

v_dual_mul_dx9_zero_f32 v255, v4, v2 :: v_dual_sub_nc_u32 v7, v1, v3
// GFX1250: v_dual_mul_dx9_zero_f32 v255, v4, v2 :: v_dual_sub_nc_u32 v7, v1, v3 ; encoding: [0x04,0x41,0x1d,0xcf,0x01,0x01,0x02,0x00,0xff,0x03,0x00,0x07]
// W64-ERR: :[[@LINE-2]]:1: error: instruction requires wavesize=32

v_dual_mul_dx9_zero_f32 v255, v1, v2 :: v_dual_sub_nc_u32 v7, v255, v3
// GFX1250: v_dual_mul_dx9_zero_f32 v255, v1, v2 :: v_dual_sub_nc_u32 v7, v255, v3 ; encoding: [0x01,0x41,0x1d,0xcf,0xff,0x01,0x02,0x00,0xff,0x03,0x00,0x07]
	;; [unrolled: 4-line block ×7, first 2 shown]
// W64-ERR: :[[@LINE-2]]:1: error: instruction requires wavesize=32

v_dual_mul_dx9_zero_f32 v255, ttmp15, v2 :: v_dual_sub_nc_u32 v7, vcc_lo, v3
// GFX1250: v_dual_mul_dx9_zero_f32 v255, ttmp15, v2 :: v_dual_sub_nc_u32 v7, vcc_lo, v3 ; encoding: [0x7b,0x40,0x1d,0xcf,0x6a,0x00,0x02,0x00,0xff,0x03,0x00,0x07]
// W64-ERR: :[[@LINE-2]]:1: error: instruction requires wavesize=32

v_dual_mul_dx9_zero_f32 v255, exec_hi, v2 :: v_dual_sub_nc_u32 v7, vcc_hi, v3
// GFX1250: v_dual_mul_dx9_zero_f32 v255, exec_hi, v2 :: v_dual_sub_nc_u32 v7, vcc_hi, v3 ; encoding: [0x7f,0x40,0x1d,0xcf,0x6b,0x00,0x02,0x00,0xff,0x03,0x00,0x07]
// W64-ERR: :[[@LINE-2]]:1: error: instruction requires wavesize=32

v_dual_mul_dx9_zero_f32 v255, exec_lo, v2 :: v_dual_sub_nc_u32 v7, ttmp15, v3
// GFX1250: v_dual_mul_dx9_zero_f32 v255, exec_lo, v2 :: v_dual_sub_nc_u32 v7, ttmp15, v3 ; encoding: [0x7e,0x40,0x1d,0xcf,0x7b,0x00,0x02,0x00,0xff,0x03,0x00,0x07]
// W64-ERR: :[[@LINE-2]]:1: error: instruction requires wavesize=32

v_dual_mul_dx9_zero_f32 v255, m0, v2 :: v_dual_sub_nc_u32 v7, m0, v3
// GFX1250: v_dual_mul_dx9_zero_f32 v255, m0, v2 :: v_dual_sub_nc_u32 v7, m0, v3 ; encoding: [0x7d,0x40,0x1d,0xcf,0x7d,0x00,0x02,0x00,0xff,0x03,0x00,0x07]
// W64-ERR: :[[@LINE-2]]:1: error: instruction requires wavesize=32

v_dual_mul_dx9_zero_f32 v255, vcc_hi, v2 :: v_dual_sub_nc_u32 v7, exec_lo, v3
// GFX1250: v_dual_mul_dx9_zero_f32 v255, vcc_hi, v2 :: v_dual_sub_nc_u32 v7, exec_lo, v3 ; encoding: [0x6b,0x40,0x1d,0xcf,0x7e,0x00,0x02,0x00,0xff,0x03,0x00,0x07]
// W64-ERR: :[[@LINE-2]]:1: error: instruction requires wavesize=32

v_dual_mul_dx9_zero_f32 v255, vcc_lo, v2 :: v_dual_sub_nc_u32 v7, exec_hi, v3
// GFX1250: v_dual_mul_dx9_zero_f32 v255, vcc_lo, v2 :: v_dual_sub_nc_u32 v7, exec_hi, v3 ; encoding: [0x6a,0x40,0x1d,0xcf,0x7f,0x00,0x02,0x00,0xff,0x03,0x00,0x07]
// W64-ERR: :[[@LINE-2]]:1: error: instruction requires wavesize=32

v_dual_mul_dx9_zero_f32 v255, src_scc, v2 :: v_dual_sub_nc_u32 v7, -1, v3
// GFX1250: v_dual_mul_dx9_zero_f32 v255, src_scc, v2 :: v_dual_sub_nc_u32 v7, -1, v3 ; encoding: [0xfd,0x40,0x1d,0xcf,0xc1,0x00,0x02,0x00,0xff,0x03,0x00,0x07]
// W64-ERR: :[[@LINE-2]]:1: error: instruction requires wavesize=32

v_dual_mul_dx9_zero_f32 v255, 0.5, v3 :: v_dual_sub_nc_u32 v7, 0.5, v2
// GFX1250: v_dual_mul_dx9_zero_f32 v255, 0.5, v3 :: v_dual_sub_nc_u32 v7, 0.5, v2 ; encoding: [0xf0,0x40,0x1d,0xcf,0xf0,0x00,0x03,0x00,0xff,0x02,0x00,0x07]
// W64-ERR: :[[@LINE-2]]:1: error: instruction requires wavesize=32

v_dual_mul_dx9_zero_f32 v255, -1, v4 :: v_dual_sub_nc_u32 v7, src_scc, v5
// GFX1250: v_dual_mul_dx9_zero_f32 v255, -1, v4 :: v_dual_sub_nc_u32 v7, src_scc, v5 ; encoding: [0xc1,0x40,0x1d,0xcf,0xfd,0x00,0x04,0x00,0xff,0x05,0x00,0x07]
// W64-ERR: :[[@LINE-2]]:1: error: instruction requires wavesize=32

v_dual_mul_f32 v255, v4, v2 :: v_dual_sub_nc_u32 v7, v1, v3
// GFX1250: v_dual_mul_f32 v255, v4, v2 :: v_dual_sub_nc_u32 v7, v1, v3 ; encoding: [0x04,0x41,0x0d,0xcf,0x01,0x01,0x02,0x00,0xff,0x03,0x00,0x07]
// W64-ERR: :[[@LINE-2]]:1: error: instruction requires wavesize=32

v_dual_mul_f32 v255, v1, v2 :: v_dual_sub_nc_u32 v7, v255, v3
// GFX1250: v_dual_mul_f32 v255, v1, v2 :: v_dual_sub_nc_u32 v7, v255, v3 ; encoding: [0x01,0x41,0x0d,0xcf,0xff,0x01,0x02,0x00,0xff,0x03,0x00,0x07]
	;; [unrolled: 4-line block ×7, first 2 shown]
// W64-ERR: :[[@LINE-2]]:1: error: instruction requires wavesize=32

v_dual_mul_f32 v255, ttmp15, v2 :: v_dual_sub_nc_u32 v7, vcc_lo, v3
// GFX1250: v_dual_mul_f32 v255, ttmp15, v2 :: v_dual_sub_nc_u32 v7, vcc_lo, v3 ; encoding: [0x7b,0x40,0x0d,0xcf,0x6a,0x00,0x02,0x00,0xff,0x03,0x00,0x07]
// W64-ERR: :[[@LINE-2]]:1: error: instruction requires wavesize=32

v_dual_mul_f32 v255, exec_hi, v2 :: v_dual_sub_nc_u32 v7, vcc_hi, v3
// GFX1250: v_dual_mul_f32 v255, exec_hi, v2 :: v_dual_sub_nc_u32 v7, vcc_hi, v3 ; encoding: [0x7f,0x40,0x0d,0xcf,0x6b,0x00,0x02,0x00,0xff,0x03,0x00,0x07]
// W64-ERR: :[[@LINE-2]]:1: error: instruction requires wavesize=32

v_dual_mul_f32 v255, exec_lo, v2 :: v_dual_sub_nc_u32 v7, ttmp15, v3
// GFX1250: v_dual_mul_f32 v255, exec_lo, v2 :: v_dual_sub_nc_u32 v7, ttmp15, v3 ; encoding: [0x7e,0x40,0x0d,0xcf,0x7b,0x00,0x02,0x00,0xff,0x03,0x00,0x07]
// W64-ERR: :[[@LINE-2]]:1: error: instruction requires wavesize=32

v_dual_mul_f32 v255, m0, v2 :: v_dual_sub_nc_u32 v7, m0, v3
// GFX1250: v_dual_mul_f32 v255, m0, v2 :: v_dual_sub_nc_u32 v7, m0, v3 ; encoding: [0x7d,0x40,0x0d,0xcf,0x7d,0x00,0x02,0x00,0xff,0x03,0x00,0x07]
// W64-ERR: :[[@LINE-2]]:1: error: instruction requires wavesize=32

v_dual_mul_f32 v255, vcc_hi, v2 :: v_dual_sub_nc_u32 v7, exec_lo, v3
// GFX1250: v_dual_mul_f32 v255, vcc_hi, v2 :: v_dual_sub_nc_u32 v7, exec_lo, v3 ; encoding: [0x6b,0x40,0x0d,0xcf,0x7e,0x00,0x02,0x00,0xff,0x03,0x00,0x07]
// W64-ERR: :[[@LINE-2]]:1: error: instruction requires wavesize=32

v_dual_mul_f32 v255, vcc_lo, v2 :: v_dual_sub_nc_u32 v7, exec_hi, v3
// GFX1250: v_dual_mul_f32 v255, vcc_lo, v2 :: v_dual_sub_nc_u32 v7, exec_hi, v3 ; encoding: [0x6a,0x40,0x0d,0xcf,0x7f,0x00,0x02,0x00,0xff,0x03,0x00,0x07]
// W64-ERR: :[[@LINE-2]]:1: error: instruction requires wavesize=32

v_dual_mul_f32 v255, src_scc, v2 :: v_dual_sub_nc_u32 v7, -1, v3
// GFX1250: v_dual_mul_f32 v255, src_scc, v2 :: v_dual_sub_nc_u32 v7, -1, v3 ; encoding: [0xfd,0x40,0x0d,0xcf,0xc1,0x00,0x02,0x00,0xff,0x03,0x00,0x07]
// W64-ERR: :[[@LINE-2]]:1: error: instruction requires wavesize=32

v_dual_mul_f32 v255, 0.5, v3 :: v_dual_sub_nc_u32 v7, 0.5, v2
// GFX1250: v_dual_mul_f32 v255, 0.5, v3 :: v_dual_sub_nc_u32 v7, 0.5, v2 ; encoding: [0xf0,0x40,0x0d,0xcf,0xf0,0x00,0x03,0x00,0xff,0x02,0x00,0x07]
// W64-ERR: :[[@LINE-2]]:1: error: instruction requires wavesize=32

v_dual_mul_f32 v255, -1, v4 :: v_dual_sub_nc_u32 v7, src_scc, v5
// GFX1250: v_dual_mul_f32 v255, -1, v4 :: v_dual_sub_nc_u32 v7, src_scc, v5 ; encoding: [0xc1,0x40,0x0d,0xcf,0xfd,0x00,0x04,0x00,0xff,0x05,0x00,0x07]
// W64-ERR: :[[@LINE-2]]:1: error: instruction requires wavesize=32

v_dual_sub_f32 v255, v4, v2 :: v_dual_sub_nc_u32 v7, v1, v3
// GFX1250: v_dual_sub_f32 v255, v4, v2 :: v_dual_sub_nc_u32 v7, v1, v3 ; encoding: [0x04,0x41,0x15,0xcf,0x01,0x01,0x02,0x00,0xff,0x03,0x00,0x07]
// W64-ERR: :[[@LINE-2]]:1: error: instruction requires wavesize=32

v_dual_sub_f32 v255, v1, v2 :: v_dual_sub_nc_u32 v7, v255, v3
// GFX1250: v_dual_sub_f32 v255, v1, v2 :: v_dual_sub_nc_u32 v7, v255, v3 ; encoding: [0x01,0x41,0x15,0xcf,0xff,0x01,0x02,0x00,0xff,0x03,0x00,0x07]
	;; [unrolled: 4-line block ×7, first 2 shown]
// W64-ERR: :[[@LINE-2]]:1: error: instruction requires wavesize=32

v_dual_sub_f32 v255, ttmp15, v2 :: v_dual_sub_nc_u32 v7, vcc_lo, v3
// GFX1250: v_dual_sub_f32 v255, ttmp15, v2 :: v_dual_sub_nc_u32 v7, vcc_lo, v3 ; encoding: [0x7b,0x40,0x15,0xcf,0x6a,0x00,0x02,0x00,0xff,0x03,0x00,0x07]
// W64-ERR: :[[@LINE-2]]:1: error: instruction requires wavesize=32

v_dual_sub_f32 v255, exec_hi, v2 :: v_dual_sub_nc_u32 v7, vcc_hi, v3
// GFX1250: v_dual_sub_f32 v255, exec_hi, v2 :: v_dual_sub_nc_u32 v7, vcc_hi, v3 ; encoding: [0x7f,0x40,0x15,0xcf,0x6b,0x00,0x02,0x00,0xff,0x03,0x00,0x07]
// W64-ERR: :[[@LINE-2]]:1: error: instruction requires wavesize=32

v_dual_sub_f32 v255, exec_lo, v2 :: v_dual_sub_nc_u32 v7, ttmp15, v3
// GFX1250: v_dual_sub_f32 v255, exec_lo, v2 :: v_dual_sub_nc_u32 v7, ttmp15, v3 ; encoding: [0x7e,0x40,0x15,0xcf,0x7b,0x00,0x02,0x00,0xff,0x03,0x00,0x07]
// W64-ERR: :[[@LINE-2]]:1: error: instruction requires wavesize=32

v_dual_sub_f32 v255, m0, v2 :: v_dual_sub_nc_u32 v7, m0, v3
// GFX1250: v_dual_sub_f32 v255, m0, v2 :: v_dual_sub_nc_u32 v7, m0, v3 ; encoding: [0x7d,0x40,0x15,0xcf,0x7d,0x00,0x02,0x00,0xff,0x03,0x00,0x07]
// W64-ERR: :[[@LINE-2]]:1: error: instruction requires wavesize=32

v_dual_sub_f32 v255, vcc_hi, v2 :: v_dual_sub_nc_u32 v7, exec_lo, v3
// GFX1250: v_dual_sub_f32 v255, vcc_hi, v2 :: v_dual_sub_nc_u32 v7, exec_lo, v3 ; encoding: [0x6b,0x40,0x15,0xcf,0x7e,0x00,0x02,0x00,0xff,0x03,0x00,0x07]
// W64-ERR: :[[@LINE-2]]:1: error: instruction requires wavesize=32

v_dual_sub_f32 v255, vcc_lo, v2 :: v_dual_sub_nc_u32 v7, exec_hi, v3
// GFX1250: v_dual_sub_f32 v255, vcc_lo, v2 :: v_dual_sub_nc_u32 v7, exec_hi, v3 ; encoding: [0x6a,0x40,0x15,0xcf,0x7f,0x00,0x02,0x00,0xff,0x03,0x00,0x07]
// W64-ERR: :[[@LINE-2]]:1: error: instruction requires wavesize=32

v_dual_sub_f32 v255, src_scc, v2 :: v_dual_sub_nc_u32 v7, -1, v3
// GFX1250: v_dual_sub_f32 v255, src_scc, v2 :: v_dual_sub_nc_u32 v7, -1, v3 ; encoding: [0xfd,0x40,0x15,0xcf,0xc1,0x00,0x02,0x00,0xff,0x03,0x00,0x07]
// W64-ERR: :[[@LINE-2]]:1: error: instruction requires wavesize=32

v_dual_sub_f32 v255, 0.5, v3 :: v_dual_sub_nc_u32 v7, 0.5, v2
// GFX1250: v_dual_sub_f32 v255, 0.5, v3 :: v_dual_sub_nc_u32 v7, 0.5, v2 ; encoding: [0xf0,0x40,0x15,0xcf,0xf0,0x00,0x03,0x00,0xff,0x02,0x00,0x07]
// W64-ERR: :[[@LINE-2]]:1: error: instruction requires wavesize=32

v_dual_sub_f32 v255, -1, v4 :: v_dual_sub_nc_u32 v7, src_scc, v5
// GFX1250: v_dual_sub_f32 v255, -1, v4 :: v_dual_sub_nc_u32 v7, src_scc, v5 ; encoding: [0xc1,0x40,0x15,0xcf,0xfd,0x00,0x04,0x00,0xff,0x05,0x00,0x07]
// W64-ERR: :[[@LINE-2]]:1: error: instruction requires wavesize=32

v_dual_subrev_f32 v255, v4, v2 :: v_dual_sub_nc_u32 v7, v1, v3
// GFX1250: v_dual_subrev_f32 v255, v4, v2 :: v_dual_sub_nc_u32 v7, v1, v3 ; encoding: [0x04,0x41,0x19,0xcf,0x01,0x01,0x02,0x00,0xff,0x03,0x00,0x07]
// W64-ERR: :[[@LINE-2]]:1: error: instruction requires wavesize=32

v_dual_subrev_f32 v255, v1, v2 :: v_dual_sub_nc_u32 v7, v255, v3
// GFX1250: v_dual_subrev_f32 v255, v1, v2 :: v_dual_sub_nc_u32 v7, v255, v3 ; encoding: [0x01,0x41,0x19,0xcf,0xff,0x01,0x02,0x00,0xff,0x03,0x00,0x07]
	;; [unrolled: 4-line block ×7, first 2 shown]
// W64-ERR: :[[@LINE-2]]:1: error: instruction requires wavesize=32

v_dual_subrev_f32 v255, ttmp15, v2 :: v_dual_sub_nc_u32 v7, vcc_lo, v3
// GFX1250: v_dual_subrev_f32 v255, ttmp15, v2 :: v_dual_sub_nc_u32 v7, vcc_lo, v3 ; encoding: [0x7b,0x40,0x19,0xcf,0x6a,0x00,0x02,0x00,0xff,0x03,0x00,0x07]
// W64-ERR: :[[@LINE-2]]:1: error: instruction requires wavesize=32

v_dual_subrev_f32 v255, exec_hi, v2 :: v_dual_sub_nc_u32 v7, vcc_hi, v3
// GFX1250: v_dual_subrev_f32 v255, exec_hi, v2 :: v_dual_sub_nc_u32 v7, vcc_hi, v3 ; encoding: [0x7f,0x40,0x19,0xcf,0x6b,0x00,0x02,0x00,0xff,0x03,0x00,0x07]
// W64-ERR: :[[@LINE-2]]:1: error: instruction requires wavesize=32

v_dual_subrev_f32 v255, exec_lo, v2 :: v_dual_sub_nc_u32 v7, ttmp15, v3
// GFX1250: v_dual_subrev_f32 v255, exec_lo, v2 :: v_dual_sub_nc_u32 v7, ttmp15, v3 ; encoding: [0x7e,0x40,0x19,0xcf,0x7b,0x00,0x02,0x00,0xff,0x03,0x00,0x07]
// W64-ERR: :[[@LINE-2]]:1: error: instruction requires wavesize=32

v_dual_subrev_f32 v255, m0, v2 :: v_dual_sub_nc_u32 v7, m0, v3
// GFX1250: v_dual_subrev_f32 v255, m0, v2 :: v_dual_sub_nc_u32 v7, m0, v3 ; encoding: [0x7d,0x40,0x19,0xcf,0x7d,0x00,0x02,0x00,0xff,0x03,0x00,0x07]
// W64-ERR: :[[@LINE-2]]:1: error: instruction requires wavesize=32

v_dual_subrev_f32 v255, vcc_hi, v2 :: v_dual_sub_nc_u32 v7, exec_lo, v3
// GFX1250: v_dual_subrev_f32 v255, vcc_hi, v2 :: v_dual_sub_nc_u32 v7, exec_lo, v3 ; encoding: [0x6b,0x40,0x19,0xcf,0x7e,0x00,0x02,0x00,0xff,0x03,0x00,0x07]
// W64-ERR: :[[@LINE-2]]:1: error: instruction requires wavesize=32

v_dual_subrev_f32 v255, vcc_lo, v2 :: v_dual_sub_nc_u32 v7, exec_hi, v3
// GFX1250: v_dual_subrev_f32 v255, vcc_lo, v2 :: v_dual_sub_nc_u32 v7, exec_hi, v3 ; encoding: [0x6a,0x40,0x19,0xcf,0x7f,0x00,0x02,0x00,0xff,0x03,0x00,0x07]
// W64-ERR: :[[@LINE-2]]:1: error: instruction requires wavesize=32

v_dual_subrev_f32 v255, src_scc, v2 :: v_dual_sub_nc_u32 v7, -1, v3
// GFX1250: v_dual_subrev_f32 v255, src_scc, v2 :: v_dual_sub_nc_u32 v7, -1, v3 ; encoding: [0xfd,0x40,0x19,0xcf,0xc1,0x00,0x02,0x00,0xff,0x03,0x00,0x07]
// W64-ERR: :[[@LINE-2]]:1: error: instruction requires wavesize=32

v_dual_subrev_f32 v255, 0.5, v3 :: v_dual_sub_nc_u32 v7, 0.5, v2
// GFX1250: v_dual_subrev_f32 v255, 0.5, v3 :: v_dual_sub_nc_u32 v7, 0.5, v2 ; encoding: [0xf0,0x40,0x19,0xcf,0xf0,0x00,0x03,0x00,0xff,0x02,0x00,0x07]
// W64-ERR: :[[@LINE-2]]:1: error: instruction requires wavesize=32

v_dual_subrev_f32 v255, -1, v4 :: v_dual_sub_nc_u32 v7, src_scc, v5
// GFX1250: v_dual_subrev_f32 v255, -1, v4 :: v_dual_sub_nc_u32 v7, src_scc, v5 ; encoding: [0xc1,0x40,0x19,0xcf,0xfd,0x00,0x04,0x00,0xff,0x05,0x00,0x07]
// W64-ERR: :[[@LINE-2]]:1: error: instruction requires wavesize=32

v_dual_add_f32 v255, v4, v2 :: v_dual_lshrrev_b32 v7, v1, v3
// GFX1250: v_dual_add_f32 v255, v4, v2 :: v_dual_lshrrev_b32 v7, v1, v3 ; encoding: [0x04,0x51,0x11,0xcf,0x01,0x01,0x02,0x00,0xff,0x03,0x00,0x07]
// W64-ERR: :[[@LINE-2]]:1: error: instruction requires wavesize=32

v_dual_add_f32 v255, v1, v2 :: v_dual_lshrrev_b32 v7, v255, v3
// GFX1250: v_dual_add_f32 v255, v1, v2 :: v_dual_lshrrev_b32 v7, v255, v3 ; encoding: [0x01,0x51,0x11,0xcf,0xff,0x01,0x02,0x00,0xff,0x03,0x00,0x07]
	;; [unrolled: 4-line block ×7, first 2 shown]
// W64-ERR: :[[@LINE-2]]:1: error: instruction requires wavesize=32

v_dual_add_f32 v255, ttmp15, v2 :: v_dual_lshrrev_b32 v7, vcc_lo, v3
// GFX1250: v_dual_add_f32 v255, ttmp15, v2 :: v_dual_lshrrev_b32 v7, vcc_lo, v3 ; encoding: [0x7b,0x50,0x11,0xcf,0x6a,0x00,0x02,0x00,0xff,0x03,0x00,0x07]
// W64-ERR: :[[@LINE-2]]:1: error: instruction requires wavesize=32

v_dual_add_f32 v255, exec_hi, v2 :: v_dual_lshrrev_b32 v7, vcc_hi, v3
// GFX1250: v_dual_add_f32 v255, exec_hi, v2 :: v_dual_lshrrev_b32 v7, vcc_hi, v3 ; encoding: [0x7f,0x50,0x11,0xcf,0x6b,0x00,0x02,0x00,0xff,0x03,0x00,0x07]
// W64-ERR: :[[@LINE-2]]:1: error: instruction requires wavesize=32

v_dual_add_f32 v255, exec_lo, v2 :: v_dual_lshrrev_b32 v7, ttmp15, v3
// GFX1250: v_dual_add_f32 v255, exec_lo, v2 :: v_dual_lshrrev_b32 v7, ttmp15, v3 ; encoding: [0x7e,0x50,0x11,0xcf,0x7b,0x00,0x02,0x00,0xff,0x03,0x00,0x07]
// W64-ERR: :[[@LINE-2]]:1: error: instruction requires wavesize=32

v_dual_add_f32 v255, m0, v2 :: v_dual_lshrrev_b32 v7, m0, v3
// GFX1250: v_dual_add_f32 v255, m0, v2 :: v_dual_lshrrev_b32 v7, m0, v3 ; encoding: [0x7d,0x50,0x11,0xcf,0x7d,0x00,0x02,0x00,0xff,0x03,0x00,0x07]
// W64-ERR: :[[@LINE-2]]:1: error: instruction requires wavesize=32

v_dual_add_f32 v255, vcc_hi, v2 :: v_dual_lshrrev_b32 v7, exec_lo, v3
// GFX1250: v_dual_add_f32 v255, vcc_hi, v2 :: v_dual_lshrrev_b32 v7, exec_lo, v3 ; encoding: [0x6b,0x50,0x11,0xcf,0x7e,0x00,0x02,0x00,0xff,0x03,0x00,0x07]
// W64-ERR: :[[@LINE-2]]:1: error: instruction requires wavesize=32

v_dual_add_f32 v255, vcc_lo, v2 :: v_dual_lshrrev_b32 v7, exec_hi, v3
// GFX1250: v_dual_add_f32 v255, vcc_lo, v2 :: v_dual_lshrrev_b32 v7, exec_hi, v3 ; encoding: [0x6a,0x50,0x11,0xcf,0x7f,0x00,0x02,0x00,0xff,0x03,0x00,0x07]
// W64-ERR: :[[@LINE-2]]:1: error: instruction requires wavesize=32

v_dual_add_f32 v255, src_scc, v2 :: v_dual_lshrrev_b32 v7, -1, v3
// GFX1250: v_dual_add_f32 v255, src_scc, v2 :: v_dual_lshrrev_b32 v7, -1, v3 ; encoding: [0xfd,0x50,0x11,0xcf,0xc1,0x00,0x02,0x00,0xff,0x03,0x00,0x07]
// W64-ERR: :[[@LINE-2]]:1: error: instruction requires wavesize=32

v_dual_add_f32 v255, 0.5, v3 :: v_dual_lshrrev_b32 v7, 0.5, v2
// GFX1250: v_dual_add_f32 v255, 0.5, v3 :: v_dual_lshrrev_b32 v7, 0.5, v2 ; encoding: [0xf0,0x50,0x11,0xcf,0xf0,0x00,0x03,0x00,0xff,0x02,0x00,0x07]
// W64-ERR: :[[@LINE-2]]:1: error: instruction requires wavesize=32

v_dual_add_f32 v255, -1, v4 :: v_dual_lshrrev_b32 v7, src_scc, v5
// GFX1250: v_dual_add_f32 v255, -1, v4 :: v_dual_lshrrev_b32 v7, src_scc, v5 ; encoding: [0xc1,0x50,0x11,0xcf,0xfd,0x00,0x04,0x00,0xff,0x05,0x00,0x07]
// W64-ERR: :[[@LINE-2]]:1: error: instruction requires wavesize=32

v_dual_cndmask_b32 v255, v4, v2, vcc_lo :: v_dual_lshrrev_b32 v7, v1, v3
// GFX1250: v_dual_cndmask_b32 v255, v4, v2, vcc_lo :: v_dual_lshrrev_b32 v7, v1, v3 ; encoding: [0x04,0x51,0x25,0xcf,0x01,0x01,0x02,0x6a,0xff,0x03,0x00,0x07]
// W64-ERR: :[[@LINE-2]]:1: error: instruction requires wavesize=32

v_dual_cndmask_b32 v255, v1, v2, vcc_lo :: v_dual_lshrrev_b32 v7, v255, v3
// GFX1250: v_dual_cndmask_b32 v255, v1, v2, vcc_lo :: v_dual_lshrrev_b32 v7, v255, v3 ; encoding: [0x01,0x51,0x25,0xcf,0xff,0x01,0x02,0x6a,0xff,0x03,0x00,0x07]
	;; [unrolled: 4-line block ×7, first 2 shown]
// W64-ERR: :[[@LINE-2]]:1: error: instruction requires wavesize=32

v_dual_cndmask_b32 v255, ttmp15, v2, vcc_lo :: v_dual_lshrrev_b32 v7, ttmp15, v3
// GFX1250: v_dual_cndmask_b32 v255, ttmp15, v2, vcc_lo :: v_dual_lshrrev_b32 v7, ttmp15, v3 ; encoding: [0x7b,0x50,0x25,0xcf,0x7b,0x00,0x02,0x6a,0xff,0x03,0x00,0x07]
// W64-ERR: :[[@LINE-2]]:1: error: instruction requires wavesize=32

v_dual_cndmask_b32 v255, exec_hi, v2, vcc_lo :: v_dual_lshrrev_b32 v7, exec_hi, v3
// GFX1250: v_dual_cndmask_b32 v255, exec_hi, v2, vcc_lo :: v_dual_lshrrev_b32 v7, exec_hi, v3 ; encoding: [0x7f,0x50,0x25,0xcf,0x7f,0x00,0x02,0x6a,0xff,0x03,0x00,0x07]
// W64-ERR: :[[@LINE-2]]:1: error: instruction requires wavesize=32

v_dual_cndmask_b32 v255, exec_lo, v2, vcc_lo :: v_dual_lshrrev_b32 v7, exec_lo, v3
// GFX1250: v_dual_cndmask_b32 v255, exec_lo, v2, vcc_lo :: v_dual_lshrrev_b32 v7, exec_lo, v3 ; encoding: [0x7e,0x50,0x25,0xcf,0x7e,0x00,0x02,0x6a,0xff,0x03,0x00,0x07]
// W64-ERR: :[[@LINE-2]]:1: error: instruction requires wavesize=32

v_dual_cndmask_b32 v255, m0, v2, vcc_lo :: v_dual_lshrrev_b32 v7, m0, v3
// GFX1250: v_dual_cndmask_b32 v255, m0, v2, vcc_lo :: v_dual_lshrrev_b32 v7, m0, v3 ; encoding: [0x7d,0x50,0x25,0xcf,0x7d,0x00,0x02,0x6a,0xff,0x03,0x00,0x07]
// W64-ERR: :[[@LINE-2]]:1: error: instruction requires wavesize=32

v_dual_cndmask_b32 v255, vcc_hi, v2, vcc_lo :: v_dual_lshrrev_b32 v7, vcc_hi, v3
// GFX1250: v_dual_cndmask_b32 v255, vcc_hi, v2, vcc_lo :: v_dual_lshrrev_b32 v7, vcc_hi, v3 ; encoding: [0x6b,0x50,0x25,0xcf,0x6b,0x00,0x02,0x6a,0xff,0x03,0x00,0x07]
// W64-ERR: :[[@LINE-2]]:1: error: instruction requires wavesize=32

v_dual_cndmask_b32 v255, vcc_lo, v2, vcc_lo :: v_dual_lshrrev_b32 v7, vcc_lo, v3
// GFX1250: v_dual_cndmask_b32 v255, vcc_lo, v2, vcc_lo :: v_dual_lshrrev_b32 v7, vcc_lo, v3 ; encoding: [0x6a,0x50,0x25,0xcf,0x6a,0x00,0x02,0x6a,0xff,0x03,0x00,0x07]
// W64-ERR: :[[@LINE-2]]:1: error: instruction requires wavesize=32

v_dual_cndmask_b32 v255, src_scc, v2, vcc_lo :: v_dual_lshrrev_b32 v7, -1, v3
// GFX1250: v_dual_cndmask_b32 v255, src_scc, v2, vcc_lo :: v_dual_lshrrev_b32 v7, -1, v3 ; encoding: [0xfd,0x50,0x25,0xcf,0xc1,0x00,0x02,0x6a,0xff,0x03,0x00,0x07]
// W64-ERR: :[[@LINE-2]]:1: error: instruction requires wavesize=32

v_dual_cndmask_b32 v255, 0.5, v3, vcc_lo :: v_dual_lshrrev_b32 v7, 0.5, v2
// GFX1250: v_dual_cndmask_b32 v255, 0.5, v3, vcc_lo :: v_dual_lshrrev_b32 v7, 0.5, v2 ; encoding: [0xf0,0x50,0x25,0xcf,0xf0,0x00,0x03,0x6a,0xff,0x02,0x00,0x07]
// W64-ERR: :[[@LINE-2]]:1: error: instruction requires wavesize=32

v_dual_cndmask_b32 v255, -1, v4, vcc_lo :: v_dual_lshrrev_b32 v7, src_scc, v5
// GFX1250: v_dual_cndmask_b32 v255, -1, v4, vcc_lo :: v_dual_lshrrev_b32 v7, src_scc, v5 ; encoding: [0xc1,0x50,0x25,0xcf,0xfd,0x00,0x04,0x6a,0xff,0x05,0x00,0x07]
// W64-ERR: :[[@LINE-2]]:1: error: instruction requires wavesize=32

v_dual_fmac_f32 v255, v4, v2 :: v_dual_lshrrev_b32 v7, v1, v3
// GFX1250: v_dual_fmac_f32 v255, v4, v2 :: v_dual_lshrrev_b32 v7, v1, v3 ; encoding: [0x04,0x51,0x01,0xcf,0x01,0x01,0x02,0x00,0xff,0x03,0x00,0x07]
// W64-ERR: :[[@LINE-2]]:1: error: instruction requires wavesize=32

v_dual_fmac_f32 v255, v1, v2 :: v_dual_lshrrev_b32 v7, v255, v3
// GFX1250: v_dual_fmac_f32 v255, v1, v2 :: v_dual_lshrrev_b32 v7, v255, v3 ; encoding: [0x01,0x51,0x01,0xcf,0xff,0x01,0x02,0x00,0xff,0x03,0x00,0x07]
	;; [unrolled: 4-line block ×7, first 2 shown]
// W64-ERR: :[[@LINE-2]]:1: error: instruction requires wavesize=32

v_dual_fmac_f32 v255, ttmp15, v2 :: v_dual_lshrrev_b32 v7, vcc_lo, v3
// GFX1250: v_dual_fmac_f32 v255, ttmp15, v2 :: v_dual_lshrrev_b32 v7, vcc_lo, v3 ; encoding: [0x7b,0x50,0x01,0xcf,0x6a,0x00,0x02,0x00,0xff,0x03,0x00,0x07]
// W64-ERR: :[[@LINE-2]]:1: error: instruction requires wavesize=32

v_dual_fmac_f32 v255, exec_hi, v2 :: v_dual_lshrrev_b32 v7, vcc_hi, v3
// GFX1250: v_dual_fmac_f32 v255, exec_hi, v2 :: v_dual_lshrrev_b32 v7, vcc_hi, v3 ; encoding: [0x7f,0x50,0x01,0xcf,0x6b,0x00,0x02,0x00,0xff,0x03,0x00,0x07]
// W64-ERR: :[[@LINE-2]]:1: error: instruction requires wavesize=32

v_dual_fmac_f32 v255, exec_lo, v2 :: v_dual_lshrrev_b32 v7, ttmp15, v3
// GFX1250: v_dual_fmac_f32 v255, exec_lo, v2 :: v_dual_lshrrev_b32 v7, ttmp15, v3 ; encoding: [0x7e,0x50,0x01,0xcf,0x7b,0x00,0x02,0x00,0xff,0x03,0x00,0x07]
// W64-ERR: :[[@LINE-2]]:1: error: instruction requires wavesize=32

v_dual_fmac_f32 v255, m0, v2 :: v_dual_lshrrev_b32 v7, m0, v3
// GFX1250: v_dual_fmac_f32 v255, m0, v2 :: v_dual_lshrrev_b32 v7, m0, v3 ; encoding: [0x7d,0x50,0x01,0xcf,0x7d,0x00,0x02,0x00,0xff,0x03,0x00,0x07]
// W64-ERR: :[[@LINE-2]]:1: error: instruction requires wavesize=32

v_dual_fmac_f32 v255, vcc_hi, v2 :: v_dual_lshrrev_b32 v7, exec_lo, v3
// GFX1250: v_dual_fmac_f32 v255, vcc_hi, v2 :: v_dual_lshrrev_b32 v7, exec_lo, v3 ; encoding: [0x6b,0x50,0x01,0xcf,0x7e,0x00,0x02,0x00,0xff,0x03,0x00,0x07]
// W64-ERR: :[[@LINE-2]]:1: error: instruction requires wavesize=32

v_dual_fmac_f32 v255, vcc_lo, v2 :: v_dual_lshrrev_b32 v7, exec_hi, v3
// GFX1250: v_dual_fmac_f32 v255, vcc_lo, v2 :: v_dual_lshrrev_b32 v7, exec_hi, v3 ; encoding: [0x6a,0x50,0x01,0xcf,0x7f,0x00,0x02,0x00,0xff,0x03,0x00,0x07]
// W64-ERR: :[[@LINE-2]]:1: error: instruction requires wavesize=32

v_dual_fmac_f32 v255, src_scc, v2 :: v_dual_lshrrev_b32 v7, -1, v3
// GFX1250: v_dual_fmac_f32 v255, src_scc, v2 :: v_dual_lshrrev_b32 v7, -1, v3 ; encoding: [0xfd,0x50,0x01,0xcf,0xc1,0x00,0x02,0x00,0xff,0x03,0x00,0x07]
// W64-ERR: :[[@LINE-2]]:1: error: instruction requires wavesize=32

v_dual_fmac_f32 v255, 0.5, v3 :: v_dual_lshrrev_b32 v7, 0.5, v2
// GFX1250: v_dual_fmac_f32 v255, 0.5, v3 :: v_dual_lshrrev_b32 v7, 0.5, v2 ; encoding: [0xf0,0x50,0x01,0xcf,0xf0,0x00,0x03,0x00,0xff,0x02,0x00,0x07]
// W64-ERR: :[[@LINE-2]]:1: error: instruction requires wavesize=32

v_dual_fmac_f32 v255, -1, v4 :: v_dual_lshrrev_b32 v7, src_scc, v5
// GFX1250: v_dual_fmac_f32 v255, -1, v4 :: v_dual_lshrrev_b32 v7, src_scc, v5 ; encoding: [0xc1,0x50,0x01,0xcf,0xfd,0x00,0x04,0x00,0xff,0x05,0x00,0x07]
// W64-ERR: :[[@LINE-2]]:1: error: instruction requires wavesize=32

v_dual_max_num_f32 v255, v4, v2 :: v_dual_lshrrev_b32 v7, v1, v3
// GFX1250: v_dual_max_num_f32 v255, v4, v2 :: v_dual_lshrrev_b32 v7, v1, v3 ; encoding: [0x04,0x51,0x29,0xcf,0x01,0x01,0x02,0x00,0xff,0x03,0x00,0x07]
// W64-ERR: :[[@LINE-2]]:1: error: instruction requires wavesize=32

v_dual_max_num_f32 v255, v1, v2 :: v_dual_lshrrev_b32 v7, v255, v3
// GFX1250: v_dual_max_num_f32 v255, v1, v2 :: v_dual_lshrrev_b32 v7, v255, v3 ; encoding: [0x01,0x51,0x29,0xcf,0xff,0x01,0x02,0x00,0xff,0x03,0x00,0x07]
	;; [unrolled: 4-line block ×7, first 2 shown]
// W64-ERR: :[[@LINE-2]]:1: error: instruction requires wavesize=32

v_dual_max_num_f32 v255, ttmp15, v2 :: v_dual_lshrrev_b32 v7, vcc_lo, v3
// GFX1250: v_dual_max_num_f32 v255, ttmp15, v2 :: v_dual_lshrrev_b32 v7, vcc_lo, v3 ; encoding: [0x7b,0x50,0x29,0xcf,0x6a,0x00,0x02,0x00,0xff,0x03,0x00,0x07]
// W64-ERR: :[[@LINE-2]]:1: error: instruction requires wavesize=32

v_dual_max_num_f32 v255, exec_hi, v2 :: v_dual_lshrrev_b32 v7, vcc_hi, v3
// GFX1250: v_dual_max_num_f32 v255, exec_hi, v2 :: v_dual_lshrrev_b32 v7, vcc_hi, v3 ; encoding: [0x7f,0x50,0x29,0xcf,0x6b,0x00,0x02,0x00,0xff,0x03,0x00,0x07]
// W64-ERR: :[[@LINE-2]]:1: error: instruction requires wavesize=32

v_dual_max_num_f32 v255, exec_lo, v2 :: v_dual_lshrrev_b32 v7, ttmp15, v3
// GFX1250: v_dual_max_num_f32 v255, exec_lo, v2 :: v_dual_lshrrev_b32 v7, ttmp15, v3 ; encoding: [0x7e,0x50,0x29,0xcf,0x7b,0x00,0x02,0x00,0xff,0x03,0x00,0x07]
// W64-ERR: :[[@LINE-2]]:1: error: instruction requires wavesize=32

v_dual_max_num_f32 v255, m0, v2 :: v_dual_lshrrev_b32 v7, m0, v3
// GFX1250: v_dual_max_num_f32 v255, m0, v2 :: v_dual_lshrrev_b32 v7, m0, v3 ; encoding: [0x7d,0x50,0x29,0xcf,0x7d,0x00,0x02,0x00,0xff,0x03,0x00,0x07]
// W64-ERR: :[[@LINE-2]]:1: error: instruction requires wavesize=32

v_dual_max_num_f32 v255, vcc_hi, v2 :: v_dual_lshrrev_b32 v7, exec_lo, v3
// GFX1250: v_dual_max_num_f32 v255, vcc_hi, v2 :: v_dual_lshrrev_b32 v7, exec_lo, v3 ; encoding: [0x6b,0x50,0x29,0xcf,0x7e,0x00,0x02,0x00,0xff,0x03,0x00,0x07]
// W64-ERR: :[[@LINE-2]]:1: error: instruction requires wavesize=32

v_dual_max_num_f32 v255, vcc_lo, v2 :: v_dual_lshrrev_b32 v7, exec_hi, v3
// GFX1250: v_dual_max_num_f32 v255, vcc_lo, v2 :: v_dual_lshrrev_b32 v7, exec_hi, v3 ; encoding: [0x6a,0x50,0x29,0xcf,0x7f,0x00,0x02,0x00,0xff,0x03,0x00,0x07]
// W64-ERR: :[[@LINE-2]]:1: error: instruction requires wavesize=32

v_dual_max_num_f32 v255, src_scc, v2 :: v_dual_lshrrev_b32 v7, -1, v3
// GFX1250: v_dual_max_num_f32 v255, src_scc, v2 :: v_dual_lshrrev_b32 v7, -1, v3 ; encoding: [0xfd,0x50,0x29,0xcf,0xc1,0x00,0x02,0x00,0xff,0x03,0x00,0x07]
// W64-ERR: :[[@LINE-2]]:1: error: instruction requires wavesize=32

v_dual_max_num_f32 v255, 0.5, v3 :: v_dual_lshrrev_b32 v7, 0.5, v2
// GFX1250: v_dual_max_num_f32 v255, 0.5, v3 :: v_dual_lshrrev_b32 v7, 0.5, v2 ; encoding: [0xf0,0x50,0x29,0xcf,0xf0,0x00,0x03,0x00,0xff,0x02,0x00,0x07]
// W64-ERR: :[[@LINE-2]]:1: error: instruction requires wavesize=32

v_dual_max_num_f32 v255, -1, v4 :: v_dual_lshrrev_b32 v7, src_scc, v5
// GFX1250: v_dual_max_num_f32 v255, -1, v4 :: v_dual_lshrrev_b32 v7, src_scc, v5 ; encoding: [0xc1,0x50,0x29,0xcf,0xfd,0x00,0x04,0x00,0xff,0x05,0x00,0x07]
// W64-ERR: :[[@LINE-2]]:1: error: instruction requires wavesize=32

v_dual_min_num_f32 v255, v4, v2 :: v_dual_lshrrev_b32 v7, v1, v3
// GFX1250: v_dual_min_num_f32 v255, v4, v2 :: v_dual_lshrrev_b32 v7, v1, v3 ; encoding: [0x04,0x51,0x2d,0xcf,0x01,0x01,0x02,0x00,0xff,0x03,0x00,0x07]
// W64-ERR: :[[@LINE-2]]:1: error: instruction requires wavesize=32

v_dual_min_num_f32 v255, v1, v2 :: v_dual_lshrrev_b32 v7, v255, v3
// GFX1250: v_dual_min_num_f32 v255, v1, v2 :: v_dual_lshrrev_b32 v7, v255, v3 ; encoding: [0x01,0x51,0x2d,0xcf,0xff,0x01,0x02,0x00,0xff,0x03,0x00,0x07]
	;; [unrolled: 4-line block ×7, first 2 shown]
// W64-ERR: :[[@LINE-2]]:1: error: instruction requires wavesize=32

v_dual_min_num_f32 v255, ttmp15, v2 :: v_dual_lshrrev_b32 v7, vcc_lo, v3
// GFX1250: v_dual_min_num_f32 v255, ttmp15, v2 :: v_dual_lshrrev_b32 v7, vcc_lo, v3 ; encoding: [0x7b,0x50,0x2d,0xcf,0x6a,0x00,0x02,0x00,0xff,0x03,0x00,0x07]
// W64-ERR: :[[@LINE-2]]:1: error: instruction requires wavesize=32

v_dual_min_num_f32 v255, exec_hi, v2 :: v_dual_lshrrev_b32 v7, vcc_hi, v3
// GFX1250: v_dual_min_num_f32 v255, exec_hi, v2 :: v_dual_lshrrev_b32 v7, vcc_hi, v3 ; encoding: [0x7f,0x50,0x2d,0xcf,0x6b,0x00,0x02,0x00,0xff,0x03,0x00,0x07]
// W64-ERR: :[[@LINE-2]]:1: error: instruction requires wavesize=32

v_dual_min_num_f32 v255, exec_lo, v2 :: v_dual_lshrrev_b32 v7, ttmp15, v3
// GFX1250: v_dual_min_num_f32 v255, exec_lo, v2 :: v_dual_lshrrev_b32 v7, ttmp15, v3 ; encoding: [0x7e,0x50,0x2d,0xcf,0x7b,0x00,0x02,0x00,0xff,0x03,0x00,0x07]
// W64-ERR: :[[@LINE-2]]:1: error: instruction requires wavesize=32

v_dual_min_num_f32 v255, m0, v2 :: v_dual_lshrrev_b32 v7, m0, v3
// GFX1250: v_dual_min_num_f32 v255, m0, v2 :: v_dual_lshrrev_b32 v7, m0, v3 ; encoding: [0x7d,0x50,0x2d,0xcf,0x7d,0x00,0x02,0x00,0xff,0x03,0x00,0x07]
// W64-ERR: :[[@LINE-2]]:1: error: instruction requires wavesize=32

v_dual_min_num_f32 v255, vcc_hi, v2 :: v_dual_lshrrev_b32 v7, exec_lo, v3
// GFX1250: v_dual_min_num_f32 v255, vcc_hi, v2 :: v_dual_lshrrev_b32 v7, exec_lo, v3 ; encoding: [0x6b,0x50,0x2d,0xcf,0x7e,0x00,0x02,0x00,0xff,0x03,0x00,0x07]
// W64-ERR: :[[@LINE-2]]:1: error: instruction requires wavesize=32

v_dual_min_num_f32 v255, vcc_lo, v2 :: v_dual_lshrrev_b32 v7, exec_hi, v3
// GFX1250: v_dual_min_num_f32 v255, vcc_lo, v2 :: v_dual_lshrrev_b32 v7, exec_hi, v3 ; encoding: [0x6a,0x50,0x2d,0xcf,0x7f,0x00,0x02,0x00,0xff,0x03,0x00,0x07]
// W64-ERR: :[[@LINE-2]]:1: error: instruction requires wavesize=32

v_dual_min_num_f32 v255, src_scc, v2 :: v_dual_lshrrev_b32 v7, -1, v3
// GFX1250: v_dual_min_num_f32 v255, src_scc, v2 :: v_dual_lshrrev_b32 v7, -1, v3 ; encoding: [0xfd,0x50,0x2d,0xcf,0xc1,0x00,0x02,0x00,0xff,0x03,0x00,0x07]
// W64-ERR: :[[@LINE-2]]:1: error: instruction requires wavesize=32

v_dual_min_num_f32 v255, 0.5, v3 :: v_dual_lshrrev_b32 v7, 0.5, v2
// GFX1250: v_dual_min_num_f32 v255, 0.5, v3 :: v_dual_lshrrev_b32 v7, 0.5, v2 ; encoding: [0xf0,0x50,0x2d,0xcf,0xf0,0x00,0x03,0x00,0xff,0x02,0x00,0x07]
// W64-ERR: :[[@LINE-2]]:1: error: instruction requires wavesize=32

v_dual_min_num_f32 v255, -1, v4 :: v_dual_lshrrev_b32 v7, src_scc, v5
// GFX1250: v_dual_min_num_f32 v255, -1, v4 :: v_dual_lshrrev_b32 v7, src_scc, v5 ; encoding: [0xc1,0x50,0x2d,0xcf,0xfd,0x00,0x04,0x00,0xff,0x05,0x00,0x07]
// W64-ERR: :[[@LINE-2]]:1: error: instruction requires wavesize=32

v_dual_mov_b32 v255, v4 :: v_dual_lshrrev_b32 v7, v1, v255
// GFX1250: v_dual_mov_b32 v255, v4 :: v_dual_lshrrev_b32 v7, v1, v255 ; encoding: [0x04,0x51,0x21,0xcf,0x01,0x01,0x00,0x00,0xff,0xff,0x00,0x07]
// W64-ERR: :[[@LINE-2]]:1: error: instruction requires wavesize=32

v_dual_mov_b32 v255, v1 :: v_dual_lshrrev_b32 v7, v255, v255
// GFX1250: v_dual_mov_b32 v255, v1 :: v_dual_lshrrev_b32 v7, v255, v255 ; encoding: [0x01,0x51,0x21,0xcf,0xff,0x01,0x00,0x00,0xff,0xff,0x00,0x07]
	;; [unrolled: 4-line block ×7, first 2 shown]
// W64-ERR: :[[@LINE-2]]:1: error: instruction requires wavesize=32

v_dual_mov_b32 v255, ttmp15 :: v_dual_lshrrev_b32 v7, vcc_lo, v255
// GFX1250: v_dual_mov_b32 v255, ttmp15 :: v_dual_lshrrev_b32 v7, vcc_lo, v255 ; encoding: [0x7b,0x50,0x21,0xcf,0x6a,0x00,0x00,0x00,0xff,0xff,0x00,0x07]
// W64-ERR: :[[@LINE-2]]:1: error: instruction requires wavesize=32

v_dual_mov_b32 v255, exec_hi :: v_dual_lshrrev_b32 v7, vcc_hi, v255
// GFX1250: v_dual_mov_b32 v255, exec_hi :: v_dual_lshrrev_b32 v7, vcc_hi, v255 ; encoding: [0x7f,0x50,0x21,0xcf,0x6b,0x00,0x00,0x00,0xff,0xff,0x00,0x07]
// W64-ERR: :[[@LINE-2]]:1: error: instruction requires wavesize=32

v_dual_mov_b32 v255, exec_lo :: v_dual_lshrrev_b32 v7, ttmp15, v255
// GFX1250: v_dual_mov_b32 v255, exec_lo :: v_dual_lshrrev_b32 v7, ttmp15, v255 ; encoding: [0x7e,0x50,0x21,0xcf,0x7b,0x00,0x00,0x00,0xff,0xff,0x00,0x07]
// W64-ERR: :[[@LINE-2]]:1: error: instruction requires wavesize=32

v_dual_mov_b32 v255, m0 :: v_dual_lshrrev_b32 v7, m0, v255
// GFX1250: v_dual_mov_b32 v255, m0 :: v_dual_lshrrev_b32 v7, m0, v255 ; encoding: [0x7d,0x50,0x21,0xcf,0x7d,0x00,0x00,0x00,0xff,0xff,0x00,0x07]
// W64-ERR: :[[@LINE-2]]:1: error: instruction requires wavesize=32

v_dual_mov_b32 v255, vcc_hi :: v_dual_lshrrev_b32 v7, exec_lo, v255
// GFX1250: v_dual_mov_b32 v255, vcc_hi :: v_dual_lshrrev_b32 v7, exec_lo, v255 ; encoding: [0x6b,0x50,0x21,0xcf,0x7e,0x00,0x00,0x00,0xff,0xff,0x00,0x07]
// W64-ERR: :[[@LINE-2]]:1: error: instruction requires wavesize=32

v_dual_mov_b32 v255, vcc_lo :: v_dual_lshrrev_b32 v7, exec_hi, v255
// GFX1250: v_dual_mov_b32 v255, vcc_lo :: v_dual_lshrrev_b32 v7, exec_hi, v255 ; encoding: [0x6a,0x50,0x21,0xcf,0x7f,0x00,0x00,0x00,0xff,0xff,0x00,0x07]
// W64-ERR: :[[@LINE-2]]:1: error: instruction requires wavesize=32

v_dual_mov_b32 v255, src_scc :: v_dual_lshrrev_b32 v7, -1, v255
// GFX1250: v_dual_mov_b32 v255, src_scc :: v_dual_lshrrev_b32 v7, -1, v255 ; encoding: [0xfd,0x50,0x21,0xcf,0xc1,0x00,0x00,0x00,0xff,0xff,0x00,0x07]
// W64-ERR: :[[@LINE-2]]:1: error: instruction requires wavesize=32

v_dual_mov_b32 v255, 0.5 :: v_dual_lshrrev_b32 v7, 0.5, v3
// GFX1250: v_dual_mov_b32 v255, 0.5 :: v_dual_lshrrev_b32 v7, 0.5, v3 ; encoding: [0xf0,0x50,0x21,0xcf,0xf0,0x00,0x00,0x00,0xff,0x03,0x00,0x07]
// W64-ERR: :[[@LINE-2]]:1: error: instruction requires wavesize=32

v_dual_mov_b32 v255, -1 :: v_dual_lshrrev_b32 v7, src_scc, v4
// GFX1250: v_dual_mov_b32 v255, -1 :: v_dual_lshrrev_b32 v7, src_scc, v4 ; encoding: [0xc1,0x50,0x21,0xcf,0xfd,0x00,0x00,0x00,0xff,0x04,0x00,0x07]
// W64-ERR: :[[@LINE-2]]:1: error: instruction requires wavesize=32

v_dual_mul_dx9_zero_f32 v255, v4, v2 :: v_dual_lshrrev_b32 v7, v1, v3
// GFX1250: v_dual_mul_dx9_zero_f32 v255, v4, v2 :: v_dual_lshrrev_b32 v7, v1, v3 ; encoding: [0x04,0x51,0x1d,0xcf,0x01,0x01,0x02,0x00,0xff,0x03,0x00,0x07]
// W64-ERR: :[[@LINE-2]]:1: error: instruction requires wavesize=32

v_dual_mul_dx9_zero_f32 v255, v1, v2 :: v_dual_lshrrev_b32 v7, v255, v3
// GFX1250: v_dual_mul_dx9_zero_f32 v255, v1, v2 :: v_dual_lshrrev_b32 v7, v255, v3 ; encoding: [0x01,0x51,0x1d,0xcf,0xff,0x01,0x02,0x00,0xff,0x03,0x00,0x07]
	;; [unrolled: 4-line block ×7, first 2 shown]
// W64-ERR: :[[@LINE-2]]:1: error: instruction requires wavesize=32

v_dual_mul_dx9_zero_f32 v255, ttmp15, v2 :: v_dual_lshrrev_b32 v7, vcc_lo, v3
// GFX1250: v_dual_mul_dx9_zero_f32 v255, ttmp15, v2 :: v_dual_lshrrev_b32 v7, vcc_lo, v3 ; encoding: [0x7b,0x50,0x1d,0xcf,0x6a,0x00,0x02,0x00,0xff,0x03,0x00,0x07]
// W64-ERR: :[[@LINE-2]]:1: error: instruction requires wavesize=32

v_dual_mul_dx9_zero_f32 v255, exec_hi, v2 :: v_dual_lshrrev_b32 v7, vcc_hi, v3
// GFX1250: v_dual_mul_dx9_zero_f32 v255, exec_hi, v2 :: v_dual_lshrrev_b32 v7, vcc_hi, v3 ; encoding: [0x7f,0x50,0x1d,0xcf,0x6b,0x00,0x02,0x00,0xff,0x03,0x00,0x07]
// W64-ERR: :[[@LINE-2]]:1: error: instruction requires wavesize=32

v_dual_mul_dx9_zero_f32 v255, exec_lo, v2 :: v_dual_lshrrev_b32 v7, ttmp15, v3
// GFX1250: v_dual_mul_dx9_zero_f32 v255, exec_lo, v2 :: v_dual_lshrrev_b32 v7, ttmp15, v3 ; encoding: [0x7e,0x50,0x1d,0xcf,0x7b,0x00,0x02,0x00,0xff,0x03,0x00,0x07]
// W64-ERR: :[[@LINE-2]]:1: error: instruction requires wavesize=32

v_dual_mul_dx9_zero_f32 v255, m0, v2 :: v_dual_lshrrev_b32 v7, m0, v3
// GFX1250: v_dual_mul_dx9_zero_f32 v255, m0, v2 :: v_dual_lshrrev_b32 v7, m0, v3 ; encoding: [0x7d,0x50,0x1d,0xcf,0x7d,0x00,0x02,0x00,0xff,0x03,0x00,0x07]
// W64-ERR: :[[@LINE-2]]:1: error: instruction requires wavesize=32

v_dual_mul_dx9_zero_f32 v255, vcc_hi, v2 :: v_dual_lshrrev_b32 v7, exec_lo, v3
// GFX1250: v_dual_mul_dx9_zero_f32 v255, vcc_hi, v2 :: v_dual_lshrrev_b32 v7, exec_lo, v3 ; encoding: [0x6b,0x50,0x1d,0xcf,0x7e,0x00,0x02,0x00,0xff,0x03,0x00,0x07]
// W64-ERR: :[[@LINE-2]]:1: error: instruction requires wavesize=32

v_dual_mul_dx9_zero_f32 v255, vcc_lo, v2 :: v_dual_lshrrev_b32 v7, exec_hi, v3
// GFX1250: v_dual_mul_dx9_zero_f32 v255, vcc_lo, v2 :: v_dual_lshrrev_b32 v7, exec_hi, v3 ; encoding: [0x6a,0x50,0x1d,0xcf,0x7f,0x00,0x02,0x00,0xff,0x03,0x00,0x07]
// W64-ERR: :[[@LINE-2]]:1: error: instruction requires wavesize=32

v_dual_mul_dx9_zero_f32 v255, src_scc, v2 :: v_dual_lshrrev_b32 v7, -1, v3
// GFX1250: v_dual_mul_dx9_zero_f32 v255, src_scc, v2 :: v_dual_lshrrev_b32 v7, -1, v3 ; encoding: [0xfd,0x50,0x1d,0xcf,0xc1,0x00,0x02,0x00,0xff,0x03,0x00,0x07]
// W64-ERR: :[[@LINE-2]]:1: error: instruction requires wavesize=32

v_dual_mul_dx9_zero_f32 v255, 0.5, v3 :: v_dual_lshrrev_b32 v7, 0.5, v2
// GFX1250: v_dual_mul_dx9_zero_f32 v255, 0.5, v3 :: v_dual_lshrrev_b32 v7, 0.5, v2 ; encoding: [0xf0,0x50,0x1d,0xcf,0xf0,0x00,0x03,0x00,0xff,0x02,0x00,0x07]
// W64-ERR: :[[@LINE-2]]:1: error: instruction requires wavesize=32

v_dual_mul_dx9_zero_f32 v255, -1, v4 :: v_dual_lshrrev_b32 v7, src_scc, v5
// GFX1250: v_dual_mul_dx9_zero_f32 v255, -1, v4 :: v_dual_lshrrev_b32 v7, src_scc, v5 ; encoding: [0xc1,0x50,0x1d,0xcf,0xfd,0x00,0x04,0x00,0xff,0x05,0x00,0x07]
// W64-ERR: :[[@LINE-2]]:1: error: instruction requires wavesize=32

v_dual_mul_f32 v255, v4, v2 :: v_dual_lshrrev_b32 v7, v1, v3
// GFX1250: v_dual_mul_f32 v255, v4, v2 :: v_dual_lshrrev_b32 v7, v1, v3 ; encoding: [0x04,0x51,0x0d,0xcf,0x01,0x01,0x02,0x00,0xff,0x03,0x00,0x07]
// W64-ERR: :[[@LINE-2]]:1: error: instruction requires wavesize=32

v_dual_mul_f32 v255, v1, v2 :: v_dual_lshrrev_b32 v7, v255, v3
// GFX1250: v_dual_mul_f32 v255, v1, v2 :: v_dual_lshrrev_b32 v7, v255, v3 ; encoding: [0x01,0x51,0x0d,0xcf,0xff,0x01,0x02,0x00,0xff,0x03,0x00,0x07]
	;; [unrolled: 4-line block ×7, first 2 shown]
// W64-ERR: :[[@LINE-2]]:1: error: instruction requires wavesize=32

v_dual_mul_f32 v255, ttmp15, v2 :: v_dual_lshrrev_b32 v7, vcc_lo, v3
// GFX1250: v_dual_mul_f32 v255, ttmp15, v2 :: v_dual_lshrrev_b32 v7, vcc_lo, v3 ; encoding: [0x7b,0x50,0x0d,0xcf,0x6a,0x00,0x02,0x00,0xff,0x03,0x00,0x07]
// W64-ERR: :[[@LINE-2]]:1: error: instruction requires wavesize=32

v_dual_mul_f32 v255, exec_hi, v2 :: v_dual_lshrrev_b32 v7, vcc_hi, v3
// GFX1250: v_dual_mul_f32 v255, exec_hi, v2 :: v_dual_lshrrev_b32 v7, vcc_hi, v3 ; encoding: [0x7f,0x50,0x0d,0xcf,0x6b,0x00,0x02,0x00,0xff,0x03,0x00,0x07]
// W64-ERR: :[[@LINE-2]]:1: error: instruction requires wavesize=32

v_dual_mul_f32 v255, exec_lo, v2 :: v_dual_lshrrev_b32 v7, ttmp15, v3
// GFX1250: v_dual_mul_f32 v255, exec_lo, v2 :: v_dual_lshrrev_b32 v7, ttmp15, v3 ; encoding: [0x7e,0x50,0x0d,0xcf,0x7b,0x00,0x02,0x00,0xff,0x03,0x00,0x07]
// W64-ERR: :[[@LINE-2]]:1: error: instruction requires wavesize=32

v_dual_mul_f32 v255, m0, v2 :: v_dual_lshrrev_b32 v7, m0, v3
// GFX1250: v_dual_mul_f32 v255, m0, v2 :: v_dual_lshrrev_b32 v7, m0, v3 ; encoding: [0x7d,0x50,0x0d,0xcf,0x7d,0x00,0x02,0x00,0xff,0x03,0x00,0x07]
// W64-ERR: :[[@LINE-2]]:1: error: instruction requires wavesize=32

v_dual_mul_f32 v255, vcc_hi, v2 :: v_dual_lshrrev_b32 v7, exec_lo, v3
// GFX1250: v_dual_mul_f32 v255, vcc_hi, v2 :: v_dual_lshrrev_b32 v7, exec_lo, v3 ; encoding: [0x6b,0x50,0x0d,0xcf,0x7e,0x00,0x02,0x00,0xff,0x03,0x00,0x07]
// W64-ERR: :[[@LINE-2]]:1: error: instruction requires wavesize=32

v_dual_mul_f32 v255, vcc_lo, v2 :: v_dual_lshrrev_b32 v7, exec_hi, v3
// GFX1250: v_dual_mul_f32 v255, vcc_lo, v2 :: v_dual_lshrrev_b32 v7, exec_hi, v3 ; encoding: [0x6a,0x50,0x0d,0xcf,0x7f,0x00,0x02,0x00,0xff,0x03,0x00,0x07]
// W64-ERR: :[[@LINE-2]]:1: error: instruction requires wavesize=32

v_dual_mul_f32 v255, src_scc, v2 :: v_dual_lshrrev_b32 v7, -1, v3
// GFX1250: v_dual_mul_f32 v255, src_scc, v2 :: v_dual_lshrrev_b32 v7, -1, v3 ; encoding: [0xfd,0x50,0x0d,0xcf,0xc1,0x00,0x02,0x00,0xff,0x03,0x00,0x07]
// W64-ERR: :[[@LINE-2]]:1: error: instruction requires wavesize=32

v_dual_mul_f32 v255, 0.5, v3 :: v_dual_lshrrev_b32 v7, 0.5, v2
// GFX1250: v_dual_mul_f32 v255, 0.5, v3 :: v_dual_lshrrev_b32 v7, 0.5, v2 ; encoding: [0xf0,0x50,0x0d,0xcf,0xf0,0x00,0x03,0x00,0xff,0x02,0x00,0x07]
// W64-ERR: :[[@LINE-2]]:1: error: instruction requires wavesize=32

v_dual_mul_f32 v255, -1, v4 :: v_dual_lshrrev_b32 v7, src_scc, v5
// GFX1250: v_dual_mul_f32 v255, -1, v4 :: v_dual_lshrrev_b32 v7, src_scc, v5 ; encoding: [0xc1,0x50,0x0d,0xcf,0xfd,0x00,0x04,0x00,0xff,0x05,0x00,0x07]
// W64-ERR: :[[@LINE-2]]:1: error: instruction requires wavesize=32

v_dual_sub_f32 v255, v4, v2 :: v_dual_lshrrev_b32 v7, v1, v3
// GFX1250: v_dual_sub_f32 v255, v4, v2 :: v_dual_lshrrev_b32 v7, v1, v3 ; encoding: [0x04,0x51,0x15,0xcf,0x01,0x01,0x02,0x00,0xff,0x03,0x00,0x07]
// W64-ERR: :[[@LINE-2]]:1: error: instruction requires wavesize=32

v_dual_sub_f32 v255, v1, v2 :: v_dual_lshrrev_b32 v7, v255, v3
// GFX1250: v_dual_sub_f32 v255, v1, v2 :: v_dual_lshrrev_b32 v7, v255, v3 ; encoding: [0x01,0x51,0x15,0xcf,0xff,0x01,0x02,0x00,0xff,0x03,0x00,0x07]
// W64-ERR: :[[@LINE-2]]:1: error: instruction requires wavesize=32

v_dual_sub_f32 v255, v255, v2 :: v_dual_lshrrev_b32 v7, v2, v3
// GFX1250: v_dual_sub_f32 v255, v255, v2 :: v_dual_lshrrev_b32 v7, v2, v3 ; encoding: [0xff,0x51,0x15,0xcf,0x02,0x01,0x02,0x00,0xff,0x03,0x00,0x07]
// W64-ERR: :[[@LINE-2]]:1: error: instruction requires wavesize=32

v_dual_sub_f32 v255, v2, v2 :: v_dual_lshrrev_b32 v7, v3, v3
// GFX1250: v_dual_sub_f32 v255, v2, v2 :: v_dual_lshrrev_b32 v7, v3, v3 ; encoding: [0x02,0x51,0x15,0xcf,0x03,0x01,0x02,0x00,0xff,0x03,0x00,0x07]
// W64-ERR: :[[@LINE-2]]:1: error: instruction requires wavesize=32

v_dual_sub_f32 v255, v3, v2 :: v_dual_lshrrev_b32 v7, v4, v3
// GFX1250: v_dual_sub_f32 v255, v3, v2 :: v_dual_lshrrev_b32 v7, v4, v3 ; encoding: [0x03,0x51,0x15,0xcf,0x04,0x01,0x02,0x00,0xff,0x03,0x00,0x07]
// W64-ERR: :[[@LINE-2]]:1: error: instruction requires wavesize=32

v_dual_sub_f32 v255, s105, v2 :: v_dual_lshrrev_b32 v7, s1, v3
// GFX1250: v_dual_sub_f32 v255, s105, v2 :: v_dual_lshrrev_b32 v7, s1, v3 ; encoding: [0x69,0x50,0x15,0xcf,0x01,0x00,0x02,0x00,0xff,0x03,0x00,0x07]
// W64-ERR: :[[@LINE-2]]:1: error: instruction requires wavesize=32

v_dual_sub_f32 v255, s1, v2 :: v_dual_lshrrev_b32 v7, s105, v3
// GFX1250: v_dual_sub_f32 v255, s1, v2 :: v_dual_lshrrev_b32 v7, s105, v3 ; encoding: [0x01,0x50,0x15,0xcf,0x69,0x00,0x02,0x00,0xff,0x03,0x00,0x07]
// W64-ERR: :[[@LINE-2]]:1: error: instruction requires wavesize=32

v_dual_sub_f32 v255, ttmp15, v2 :: v_dual_lshrrev_b32 v7, vcc_lo, v3
// GFX1250: v_dual_sub_f32 v255, ttmp15, v2 :: v_dual_lshrrev_b32 v7, vcc_lo, v3 ; encoding: [0x7b,0x50,0x15,0xcf,0x6a,0x00,0x02,0x00,0xff,0x03,0x00,0x07]
// W64-ERR: :[[@LINE-2]]:1: error: instruction requires wavesize=32

v_dual_sub_f32 v255, exec_hi, v2 :: v_dual_lshrrev_b32 v7, vcc_hi, v3
// GFX1250: v_dual_sub_f32 v255, exec_hi, v2 :: v_dual_lshrrev_b32 v7, vcc_hi, v3 ; encoding: [0x7f,0x50,0x15,0xcf,0x6b,0x00,0x02,0x00,0xff,0x03,0x00,0x07]
// W64-ERR: :[[@LINE-2]]:1: error: instruction requires wavesize=32

v_dual_sub_f32 v255, exec_lo, v2 :: v_dual_lshrrev_b32 v7, ttmp15, v3
// GFX1250: v_dual_sub_f32 v255, exec_lo, v2 :: v_dual_lshrrev_b32 v7, ttmp15, v3 ; encoding: [0x7e,0x50,0x15,0xcf,0x7b,0x00,0x02,0x00,0xff,0x03,0x00,0x07]
// W64-ERR: :[[@LINE-2]]:1: error: instruction requires wavesize=32

v_dual_sub_f32 v255, m0, v2 :: v_dual_lshrrev_b32 v7, m0, v3
// GFX1250: v_dual_sub_f32 v255, m0, v2 :: v_dual_lshrrev_b32 v7, m0, v3 ; encoding: [0x7d,0x50,0x15,0xcf,0x7d,0x00,0x02,0x00,0xff,0x03,0x00,0x07]
// W64-ERR: :[[@LINE-2]]:1: error: instruction requires wavesize=32

v_dual_sub_f32 v255, vcc_hi, v2 :: v_dual_lshrrev_b32 v7, exec_lo, v3
// GFX1250: v_dual_sub_f32 v255, vcc_hi, v2 :: v_dual_lshrrev_b32 v7, exec_lo, v3 ; encoding: [0x6b,0x50,0x15,0xcf,0x7e,0x00,0x02,0x00,0xff,0x03,0x00,0x07]
// W64-ERR: :[[@LINE-2]]:1: error: instruction requires wavesize=32

v_dual_sub_f32 v255, vcc_lo, v2 :: v_dual_lshrrev_b32 v7, exec_hi, v3
// GFX1250: v_dual_sub_f32 v255, vcc_lo, v2 :: v_dual_lshrrev_b32 v7, exec_hi, v3 ; encoding: [0x6a,0x50,0x15,0xcf,0x7f,0x00,0x02,0x00,0xff,0x03,0x00,0x07]
// W64-ERR: :[[@LINE-2]]:1: error: instruction requires wavesize=32

v_dual_sub_f32 v255, src_scc, v2 :: v_dual_lshrrev_b32 v7, -1, v3
// GFX1250: v_dual_sub_f32 v255, src_scc, v2 :: v_dual_lshrrev_b32 v7, -1, v3 ; encoding: [0xfd,0x50,0x15,0xcf,0xc1,0x00,0x02,0x00,0xff,0x03,0x00,0x07]
// W64-ERR: :[[@LINE-2]]:1: error: instruction requires wavesize=32

v_dual_sub_f32 v255, 0.5, v3 :: v_dual_lshrrev_b32 v7, 0.5, v2
// GFX1250: v_dual_sub_f32 v255, 0.5, v3 :: v_dual_lshrrev_b32 v7, 0.5, v2 ; encoding: [0xf0,0x50,0x15,0xcf,0xf0,0x00,0x03,0x00,0xff,0x02,0x00,0x07]
// W64-ERR: :[[@LINE-2]]:1: error: instruction requires wavesize=32

v_dual_sub_f32 v255, -1, v4 :: v_dual_lshrrev_b32 v7, src_scc, v5
// GFX1250: v_dual_sub_f32 v255, -1, v4 :: v_dual_lshrrev_b32 v7, src_scc, v5 ; encoding: [0xc1,0x50,0x15,0xcf,0xfd,0x00,0x04,0x00,0xff,0x05,0x00,0x07]
// W64-ERR: :[[@LINE-2]]:1: error: instruction requires wavesize=32

v_dual_subrev_f32 v255, v4, v2 :: v_dual_lshrrev_b32 v7, v1, v3
// GFX1250: v_dual_subrev_f32 v255, v4, v2 :: v_dual_lshrrev_b32 v7, v1, v3 ; encoding: [0x04,0x51,0x19,0xcf,0x01,0x01,0x02,0x00,0xff,0x03,0x00,0x07]
// W64-ERR: :[[@LINE-2]]:1: error: instruction requires wavesize=32

v_dual_subrev_f32 v255, v1, v2 :: v_dual_lshrrev_b32 v7, v255, v3
// GFX1250: v_dual_subrev_f32 v255, v1, v2 :: v_dual_lshrrev_b32 v7, v255, v3 ; encoding: [0x01,0x51,0x19,0xcf,0xff,0x01,0x02,0x00,0xff,0x03,0x00,0x07]
	;; [unrolled: 4-line block ×7, first 2 shown]
// W64-ERR: :[[@LINE-2]]:1: error: instruction requires wavesize=32

v_dual_subrev_f32 v255, ttmp15, v2 :: v_dual_lshrrev_b32 v7, vcc_lo, v3
// GFX1250: v_dual_subrev_f32 v255, ttmp15, v2 :: v_dual_lshrrev_b32 v7, vcc_lo, v3 ; encoding: [0x7b,0x50,0x19,0xcf,0x6a,0x00,0x02,0x00,0xff,0x03,0x00,0x07]
// W64-ERR: :[[@LINE-2]]:1: error: instruction requires wavesize=32

v_dual_subrev_f32 v255, exec_hi, v2 :: v_dual_lshrrev_b32 v7, vcc_hi, v3
// GFX1250: v_dual_subrev_f32 v255, exec_hi, v2 :: v_dual_lshrrev_b32 v7, vcc_hi, v3 ; encoding: [0x7f,0x50,0x19,0xcf,0x6b,0x00,0x02,0x00,0xff,0x03,0x00,0x07]
// W64-ERR: :[[@LINE-2]]:1: error: instruction requires wavesize=32

v_dual_subrev_f32 v255, exec_lo, v2 :: v_dual_lshrrev_b32 v7, ttmp15, v3
// GFX1250: v_dual_subrev_f32 v255, exec_lo, v2 :: v_dual_lshrrev_b32 v7, ttmp15, v3 ; encoding: [0x7e,0x50,0x19,0xcf,0x7b,0x00,0x02,0x00,0xff,0x03,0x00,0x07]
// W64-ERR: :[[@LINE-2]]:1: error: instruction requires wavesize=32

v_dual_subrev_f32 v255, m0, v2 :: v_dual_lshrrev_b32 v7, m0, v3
// GFX1250: v_dual_subrev_f32 v255, m0, v2 :: v_dual_lshrrev_b32 v7, m0, v3 ; encoding: [0x7d,0x50,0x19,0xcf,0x7d,0x00,0x02,0x00,0xff,0x03,0x00,0x07]
// W64-ERR: :[[@LINE-2]]:1: error: instruction requires wavesize=32

v_dual_subrev_f32 v255, vcc_hi, v2 :: v_dual_lshrrev_b32 v7, exec_lo, v3
// GFX1250: v_dual_subrev_f32 v255, vcc_hi, v2 :: v_dual_lshrrev_b32 v7, exec_lo, v3 ; encoding: [0x6b,0x50,0x19,0xcf,0x7e,0x00,0x02,0x00,0xff,0x03,0x00,0x07]
// W64-ERR: :[[@LINE-2]]:1: error: instruction requires wavesize=32

v_dual_subrev_f32 v255, vcc_lo, v2 :: v_dual_lshrrev_b32 v7, exec_hi, v3
// GFX1250: v_dual_subrev_f32 v255, vcc_lo, v2 :: v_dual_lshrrev_b32 v7, exec_hi, v3 ; encoding: [0x6a,0x50,0x19,0xcf,0x7f,0x00,0x02,0x00,0xff,0x03,0x00,0x07]
// W64-ERR: :[[@LINE-2]]:1: error: instruction requires wavesize=32

v_dual_subrev_f32 v255, src_scc, v2 :: v_dual_lshrrev_b32 v7, -1, v3
// GFX1250: v_dual_subrev_f32 v255, src_scc, v2 :: v_dual_lshrrev_b32 v7, -1, v3 ; encoding: [0xfd,0x50,0x19,0xcf,0xc1,0x00,0x02,0x00,0xff,0x03,0x00,0x07]
// W64-ERR: :[[@LINE-2]]:1: error: instruction requires wavesize=32

v_dual_subrev_f32 v255, 0.5, v3 :: v_dual_lshrrev_b32 v7, 0.5, v2
// GFX1250: v_dual_subrev_f32 v255, 0.5, v3 :: v_dual_lshrrev_b32 v7, 0.5, v2 ; encoding: [0xf0,0x50,0x19,0xcf,0xf0,0x00,0x03,0x00,0xff,0x02,0x00,0x07]
// W64-ERR: :[[@LINE-2]]:1: error: instruction requires wavesize=32

v_dual_subrev_f32 v255, -1, v4 :: v_dual_lshrrev_b32 v7, src_scc, v5
// GFX1250: v_dual_subrev_f32 v255, -1, v4 :: v_dual_lshrrev_b32 v7, src_scc, v5 ; encoding: [0xc1,0x50,0x19,0xcf,0xfd,0x00,0x04,0x00,0xff,0x05,0x00,0x07]
// W64-ERR: :[[@LINE-2]]:1: error: instruction requires wavesize=32

v_dual_add_f32 v255, v4, v2 :: v_dual_ashrrev_i32 v7, v1, v3
// GFX1250: v_dual_add_f32 v255, v4, v2 :: v_dual_ashrrev_i32 v7, v1, v3 ; encoding: [0x04,0x61,0x11,0xcf,0x01,0x01,0x02,0x00,0xff,0x03,0x00,0x07]
// W64-ERR: :[[@LINE-2]]:1: error: instruction requires wavesize=32

v_dual_add_f32 v255, v1, v2 :: v_dual_ashrrev_i32 v7, v255, v3
// GFX1250: v_dual_add_f32 v255, v1, v2 :: v_dual_ashrrev_i32 v7, v255, v3 ; encoding: [0x01,0x61,0x11,0xcf,0xff,0x01,0x02,0x00,0xff,0x03,0x00,0x07]
// W64-ERR: :[[@LINE-2]]:1: error: instruction requires wavesize=32

v_dual_add_f32 v255, v255, v2 :: v_dual_ashrrev_i32 v7, v2, v3
// GFX1250: v_dual_add_f32 v255, v255, v2 :: v_dual_ashrrev_i32 v7, v2, v3 ; encoding: [0xff,0x61,0x11,0xcf,0x02,0x01,0x02,0x00,0xff,0x03,0x00,0x07]
// W64-ERR: :[[@LINE-2]]:1: error: instruction requires wavesize=32

v_dual_add_f32 v255, v2, v2 :: v_dual_ashrrev_i32 v7, v3, v3
// GFX1250: v_dual_add_f32 v255, v2, v2 :: v_dual_ashrrev_i32 v7, v3, v3 ; encoding: [0x02,0x61,0x11,0xcf,0x03,0x01,0x02,0x00,0xff,0x03,0x00,0x07]
// W64-ERR: :[[@LINE-2]]:1: error: instruction requires wavesize=32

v_dual_add_f32 v255, v3, v2 :: v_dual_ashrrev_i32 v7, v4, v3
// GFX1250: v_dual_add_f32 v255, v3, v2 :: v_dual_ashrrev_i32 v7, v4, v3 ; encoding: [0x03,0x61,0x11,0xcf,0x04,0x01,0x02,0x00,0xff,0x03,0x00,0x07]
// W64-ERR: :[[@LINE-2]]:1: error: instruction requires wavesize=32

v_dual_add_f32 v255, s105, v2 :: v_dual_ashrrev_i32 v7, s1, v3
// GFX1250: v_dual_add_f32 v255, s105, v2 :: v_dual_ashrrev_i32 v7, s1, v3 ; encoding: [0x69,0x60,0x11,0xcf,0x01,0x00,0x02,0x00,0xff,0x03,0x00,0x07]
// W64-ERR: :[[@LINE-2]]:1: error: instruction requires wavesize=32

v_dual_add_f32 v255, s1, v2 :: v_dual_ashrrev_i32 v7, s105, v3
// GFX1250: v_dual_add_f32 v255, s1, v2 :: v_dual_ashrrev_i32 v7, s105, v3 ; encoding: [0x01,0x60,0x11,0xcf,0x69,0x00,0x02,0x00,0xff,0x03,0x00,0x07]
// W64-ERR: :[[@LINE-2]]:1: error: instruction requires wavesize=32

v_dual_add_f32 v255, ttmp15, v2 :: v_dual_ashrrev_i32 v7, vcc_lo, v3
// GFX1250: v_dual_add_f32 v255, ttmp15, v2 :: v_dual_ashrrev_i32 v7, vcc_lo, v3 ; encoding: [0x7b,0x60,0x11,0xcf,0x6a,0x00,0x02,0x00,0xff,0x03,0x00,0x07]
// W64-ERR: :[[@LINE-2]]:1: error: instruction requires wavesize=32

v_dual_add_f32 v255, exec_hi, v2 :: v_dual_ashrrev_i32 v7, vcc_hi, v3
// GFX1250: v_dual_add_f32 v255, exec_hi, v2 :: v_dual_ashrrev_i32 v7, vcc_hi, v3 ; encoding: [0x7f,0x60,0x11,0xcf,0x6b,0x00,0x02,0x00,0xff,0x03,0x00,0x07]
// W64-ERR: :[[@LINE-2]]:1: error: instruction requires wavesize=32

v_dual_add_f32 v255, exec_lo, v2 :: v_dual_ashrrev_i32 v7, ttmp15, v3
// GFX1250: v_dual_add_f32 v255, exec_lo, v2 :: v_dual_ashrrev_i32 v7, ttmp15, v3 ; encoding: [0x7e,0x60,0x11,0xcf,0x7b,0x00,0x02,0x00,0xff,0x03,0x00,0x07]
// W64-ERR: :[[@LINE-2]]:1: error: instruction requires wavesize=32

v_dual_add_f32 v255, m0, v2 :: v_dual_ashrrev_i32 v7, m0, v3
// GFX1250: v_dual_add_f32 v255, m0, v2 :: v_dual_ashrrev_i32 v7, m0, v3 ; encoding: [0x7d,0x60,0x11,0xcf,0x7d,0x00,0x02,0x00,0xff,0x03,0x00,0x07]
// W64-ERR: :[[@LINE-2]]:1: error: instruction requires wavesize=32

v_dual_add_f32 v255, vcc_hi, v2 :: v_dual_ashrrev_i32 v7, exec_lo, v3
// GFX1250: v_dual_add_f32 v255, vcc_hi, v2 :: v_dual_ashrrev_i32 v7, exec_lo, v3 ; encoding: [0x6b,0x60,0x11,0xcf,0x7e,0x00,0x02,0x00,0xff,0x03,0x00,0x07]
// W64-ERR: :[[@LINE-2]]:1: error: instruction requires wavesize=32

v_dual_add_f32 v255, vcc_lo, v2 :: v_dual_ashrrev_i32 v7, exec_hi, v3
// GFX1250: v_dual_add_f32 v255, vcc_lo, v2 :: v_dual_ashrrev_i32 v7, exec_hi, v3 ; encoding: [0x6a,0x60,0x11,0xcf,0x7f,0x00,0x02,0x00,0xff,0x03,0x00,0x07]
// W64-ERR: :[[@LINE-2]]:1: error: instruction requires wavesize=32

v_dual_add_f32 v255, src_scc, v2 :: v_dual_ashrrev_i32 v7, -1, v3
// GFX1250: v_dual_add_f32 v255, src_scc, v2 :: v_dual_ashrrev_i32 v7, -1, v3 ; encoding: [0xfd,0x60,0x11,0xcf,0xc1,0x00,0x02,0x00,0xff,0x03,0x00,0x07]
// W64-ERR: :[[@LINE-2]]:1: error: instruction requires wavesize=32

v_dual_add_f32 v255, 0.5, v3 :: v_dual_ashrrev_i32 v7, 0.5, v2
// GFX1250: v_dual_add_f32 v255, 0.5, v3 :: v_dual_ashrrev_i32 v7, 0.5, v2 ; encoding: [0xf0,0x60,0x11,0xcf,0xf0,0x00,0x03,0x00,0xff,0x02,0x00,0x07]
// W64-ERR: :[[@LINE-2]]:1: error: instruction requires wavesize=32

v_dual_add_f32 v255, -1, v4 :: v_dual_ashrrev_i32 v7, src_scc, v5
// GFX1250: v_dual_add_f32 v255, -1, v4 :: v_dual_ashrrev_i32 v7, src_scc, v5 ; encoding: [0xc1,0x60,0x11,0xcf,0xfd,0x00,0x04,0x00,0xff,0x05,0x00,0x07]
// W64-ERR: :[[@LINE-2]]:1: error: instruction requires wavesize=32

v_dual_cndmask_b32 v255, v4, v2, vcc_lo :: v_dual_ashrrev_i32 v7, v1, v3
// GFX1250: v_dual_cndmask_b32 v255, v4, v2, vcc_lo :: v_dual_ashrrev_i32 v7, v1, v3 ; encoding: [0x04,0x61,0x25,0xcf,0x01,0x01,0x02,0x6a,0xff,0x03,0x00,0x07]
// W64-ERR: :[[@LINE-2]]:1: error: instruction requires wavesize=32

v_dual_cndmask_b32 v255, v1, v2, vcc_lo :: v_dual_ashrrev_i32 v7, v255, v3
// GFX1250: v_dual_cndmask_b32 v255, v1, v2, vcc_lo :: v_dual_ashrrev_i32 v7, v255, v3 ; encoding: [0x01,0x61,0x25,0xcf,0xff,0x01,0x02,0x6a,0xff,0x03,0x00,0x07]
	;; [unrolled: 4-line block ×7, first 2 shown]
// W64-ERR: :[[@LINE-2]]:1: error: instruction requires wavesize=32

v_dual_cndmask_b32 v255, ttmp15, v2, vcc_lo :: v_dual_ashrrev_i32 v7, ttmp15, v3
// GFX1250: v_dual_cndmask_b32 v255, ttmp15, v2, vcc_lo :: v_dual_ashrrev_i32 v7, ttmp15, v3 ; encoding: [0x7b,0x60,0x25,0xcf,0x7b,0x00,0x02,0x6a,0xff,0x03,0x00,0x07]
// W64-ERR: :[[@LINE-2]]:1: error: instruction requires wavesize=32

v_dual_cndmask_b32 v255, exec_hi, v2, vcc_lo :: v_dual_ashrrev_i32 v7, exec_hi, v3
// GFX1250: v_dual_cndmask_b32 v255, exec_hi, v2, vcc_lo :: v_dual_ashrrev_i32 v7, exec_hi, v3 ; encoding: [0x7f,0x60,0x25,0xcf,0x7f,0x00,0x02,0x6a,0xff,0x03,0x00,0x07]
// W64-ERR: :[[@LINE-2]]:1: error: instruction requires wavesize=32

v_dual_cndmask_b32 v255, exec_lo, v2, vcc_lo :: v_dual_ashrrev_i32 v7, exec_lo, v3
// GFX1250: v_dual_cndmask_b32 v255, exec_lo, v2, vcc_lo :: v_dual_ashrrev_i32 v7, exec_lo, v3 ; encoding: [0x7e,0x60,0x25,0xcf,0x7e,0x00,0x02,0x6a,0xff,0x03,0x00,0x07]
// W64-ERR: :[[@LINE-2]]:1: error: instruction requires wavesize=32

v_dual_cndmask_b32 v255, m0, v2, vcc_lo :: v_dual_ashrrev_i32 v7, m0, v3
// GFX1250: v_dual_cndmask_b32 v255, m0, v2, vcc_lo :: v_dual_ashrrev_i32 v7, m0, v3 ; encoding: [0x7d,0x60,0x25,0xcf,0x7d,0x00,0x02,0x6a,0xff,0x03,0x00,0x07]
// W64-ERR: :[[@LINE-2]]:1: error: instruction requires wavesize=32

v_dual_cndmask_b32 v255, vcc_hi, v2, vcc_lo :: v_dual_ashrrev_i32 v7, vcc_hi, v3
// GFX1250: v_dual_cndmask_b32 v255, vcc_hi, v2, vcc_lo :: v_dual_ashrrev_i32 v7, vcc_hi, v3 ; encoding: [0x6b,0x60,0x25,0xcf,0x6b,0x00,0x02,0x6a,0xff,0x03,0x00,0x07]
// W64-ERR: :[[@LINE-2]]:1: error: instruction requires wavesize=32

v_dual_cndmask_b32 v255, vcc_lo, v2, vcc_lo :: v_dual_ashrrev_i32 v7, vcc_lo, v3
// GFX1250: v_dual_cndmask_b32 v255, vcc_lo, v2, vcc_lo :: v_dual_ashrrev_i32 v7, vcc_lo, v3 ; encoding: [0x6a,0x60,0x25,0xcf,0x6a,0x00,0x02,0x6a,0xff,0x03,0x00,0x07]
// W64-ERR: :[[@LINE-2]]:1: error: instruction requires wavesize=32

v_dual_cndmask_b32 v255, src_scc, v2, vcc_lo :: v_dual_ashrrev_i32 v7, -1, v3
// GFX1250: v_dual_cndmask_b32 v255, src_scc, v2, vcc_lo :: v_dual_ashrrev_i32 v7, -1, v3 ; encoding: [0xfd,0x60,0x25,0xcf,0xc1,0x00,0x02,0x6a,0xff,0x03,0x00,0x07]
// W64-ERR: :[[@LINE-2]]:1: error: instruction requires wavesize=32

v_dual_cndmask_b32 v255, 0.5, v3, vcc_lo :: v_dual_ashrrev_i32 v7, 0.5, v2
// GFX1250: v_dual_cndmask_b32 v255, 0.5, v3, vcc_lo :: v_dual_ashrrev_i32 v7, 0.5, v2 ; encoding: [0xf0,0x60,0x25,0xcf,0xf0,0x00,0x03,0x6a,0xff,0x02,0x00,0x07]
// W64-ERR: :[[@LINE-2]]:1: error: instruction requires wavesize=32

v_dual_cndmask_b32 v255, -1, v4, vcc_lo :: v_dual_ashrrev_i32 v7, src_scc, v5
// GFX1250: v_dual_cndmask_b32 v255, -1, v4, vcc_lo :: v_dual_ashrrev_i32 v7, src_scc, v5 ; encoding: [0xc1,0x60,0x25,0xcf,0xfd,0x00,0x04,0x6a,0xff,0x05,0x00,0x07]
// W64-ERR: :[[@LINE-2]]:1: error: instruction requires wavesize=32

v_dual_fmac_f32 v255, v4, v2 :: v_dual_ashrrev_i32 v7, v1, v3
// GFX1250: v_dual_fmac_f32 v255, v4, v2 :: v_dual_ashrrev_i32 v7, v1, v3 ; encoding: [0x04,0x61,0x01,0xcf,0x01,0x01,0x02,0x00,0xff,0x03,0x00,0x07]
// W64-ERR: :[[@LINE-2]]:1: error: instruction requires wavesize=32

v_dual_fmac_f32 v255, v1, v2 :: v_dual_ashrrev_i32 v7, v255, v3
// GFX1250: v_dual_fmac_f32 v255, v1, v2 :: v_dual_ashrrev_i32 v7, v255, v3 ; encoding: [0x01,0x61,0x01,0xcf,0xff,0x01,0x02,0x00,0xff,0x03,0x00,0x07]
	;; [unrolled: 4-line block ×7, first 2 shown]
// W64-ERR: :[[@LINE-2]]:1: error: instruction requires wavesize=32

v_dual_fmac_f32 v255, ttmp15, v2 :: v_dual_ashrrev_i32 v7, vcc_lo, v3
// GFX1250: v_dual_fmac_f32 v255, ttmp15, v2 :: v_dual_ashrrev_i32 v7, vcc_lo, v3 ; encoding: [0x7b,0x60,0x01,0xcf,0x6a,0x00,0x02,0x00,0xff,0x03,0x00,0x07]
// W64-ERR: :[[@LINE-2]]:1: error: instruction requires wavesize=32

v_dual_fmac_f32 v255, exec_hi, v2 :: v_dual_ashrrev_i32 v7, vcc_hi, v3
// GFX1250: v_dual_fmac_f32 v255, exec_hi, v2 :: v_dual_ashrrev_i32 v7, vcc_hi, v3 ; encoding: [0x7f,0x60,0x01,0xcf,0x6b,0x00,0x02,0x00,0xff,0x03,0x00,0x07]
// W64-ERR: :[[@LINE-2]]:1: error: instruction requires wavesize=32

v_dual_fmac_f32 v255, exec_lo, v2 :: v_dual_ashrrev_i32 v7, ttmp15, v3
// GFX1250: v_dual_fmac_f32 v255, exec_lo, v2 :: v_dual_ashrrev_i32 v7, ttmp15, v3 ; encoding: [0x7e,0x60,0x01,0xcf,0x7b,0x00,0x02,0x00,0xff,0x03,0x00,0x07]
// W64-ERR: :[[@LINE-2]]:1: error: instruction requires wavesize=32

v_dual_fmac_f32 v255, m0, v2 :: v_dual_ashrrev_i32 v7, m0, v3
// GFX1250: v_dual_fmac_f32 v255, m0, v2 :: v_dual_ashrrev_i32 v7, m0, v3 ; encoding: [0x7d,0x60,0x01,0xcf,0x7d,0x00,0x02,0x00,0xff,0x03,0x00,0x07]
// W64-ERR: :[[@LINE-2]]:1: error: instruction requires wavesize=32

v_dual_fmac_f32 v255, vcc_hi, v2 :: v_dual_ashrrev_i32 v7, exec_lo, v3
// GFX1250: v_dual_fmac_f32 v255, vcc_hi, v2 :: v_dual_ashrrev_i32 v7, exec_lo, v3 ; encoding: [0x6b,0x60,0x01,0xcf,0x7e,0x00,0x02,0x00,0xff,0x03,0x00,0x07]
// W64-ERR: :[[@LINE-2]]:1: error: instruction requires wavesize=32

v_dual_fmac_f32 v255, vcc_lo, v2 :: v_dual_ashrrev_i32 v7, exec_hi, v3
// GFX1250: v_dual_fmac_f32 v255, vcc_lo, v2 :: v_dual_ashrrev_i32 v7, exec_hi, v3 ; encoding: [0x6a,0x60,0x01,0xcf,0x7f,0x00,0x02,0x00,0xff,0x03,0x00,0x07]
// W64-ERR: :[[@LINE-2]]:1: error: instruction requires wavesize=32

v_dual_fmac_f32 v255, src_scc, v2 :: v_dual_ashrrev_i32 v7, -1, v3
// GFX1250: v_dual_fmac_f32 v255, src_scc, v2 :: v_dual_ashrrev_i32 v7, -1, v3 ; encoding: [0xfd,0x60,0x01,0xcf,0xc1,0x00,0x02,0x00,0xff,0x03,0x00,0x07]
// W64-ERR: :[[@LINE-2]]:1: error: instruction requires wavesize=32

v_dual_fmac_f32 v255, 0.5, v3 :: v_dual_ashrrev_i32 v7, 0.5, v2
// GFX1250: v_dual_fmac_f32 v255, 0.5, v3 :: v_dual_ashrrev_i32 v7, 0.5, v2 ; encoding: [0xf0,0x60,0x01,0xcf,0xf0,0x00,0x03,0x00,0xff,0x02,0x00,0x07]
// W64-ERR: :[[@LINE-2]]:1: error: instruction requires wavesize=32

v_dual_fmac_f32 v255, -1, v4 :: v_dual_ashrrev_i32 v7, src_scc, v5
// GFX1250: v_dual_fmac_f32 v255, -1, v4 :: v_dual_ashrrev_i32 v7, src_scc, v5 ; encoding: [0xc1,0x60,0x01,0xcf,0xfd,0x00,0x04,0x00,0xff,0x05,0x00,0x07]
// W64-ERR: :[[@LINE-2]]:1: error: instruction requires wavesize=32

v_dual_max_num_f32 v255, v4, v2 :: v_dual_ashrrev_i32 v7, v1, v3
// GFX1250: v_dual_max_num_f32 v255, v4, v2 :: v_dual_ashrrev_i32 v7, v1, v3 ; encoding: [0x04,0x61,0x29,0xcf,0x01,0x01,0x02,0x00,0xff,0x03,0x00,0x07]
// W64-ERR: :[[@LINE-2]]:1: error: instruction requires wavesize=32

v_dual_max_num_f32 v255, v1, v2 :: v_dual_ashrrev_i32 v7, v255, v3
// GFX1250: v_dual_max_num_f32 v255, v1, v2 :: v_dual_ashrrev_i32 v7, v255, v3 ; encoding: [0x01,0x61,0x29,0xcf,0xff,0x01,0x02,0x00,0xff,0x03,0x00,0x07]
	;; [unrolled: 4-line block ×7, first 2 shown]
// W64-ERR: :[[@LINE-2]]:1: error: instruction requires wavesize=32

v_dual_max_num_f32 v255, ttmp15, v2 :: v_dual_ashrrev_i32 v7, vcc_lo, v3
// GFX1250: v_dual_max_num_f32 v255, ttmp15, v2 :: v_dual_ashrrev_i32 v7, vcc_lo, v3 ; encoding: [0x7b,0x60,0x29,0xcf,0x6a,0x00,0x02,0x00,0xff,0x03,0x00,0x07]
// W64-ERR: :[[@LINE-2]]:1: error: instruction requires wavesize=32

v_dual_max_num_f32 v255, exec_hi, v2 :: v_dual_ashrrev_i32 v7, vcc_hi, v3
// GFX1250: v_dual_max_num_f32 v255, exec_hi, v2 :: v_dual_ashrrev_i32 v7, vcc_hi, v3 ; encoding: [0x7f,0x60,0x29,0xcf,0x6b,0x00,0x02,0x00,0xff,0x03,0x00,0x07]
// W64-ERR: :[[@LINE-2]]:1: error: instruction requires wavesize=32

v_dual_max_num_f32 v255, exec_lo, v2 :: v_dual_ashrrev_i32 v7, ttmp15, v3
// GFX1250: v_dual_max_num_f32 v255, exec_lo, v2 :: v_dual_ashrrev_i32 v7, ttmp15, v3 ; encoding: [0x7e,0x60,0x29,0xcf,0x7b,0x00,0x02,0x00,0xff,0x03,0x00,0x07]
// W64-ERR: :[[@LINE-2]]:1: error: instruction requires wavesize=32

v_dual_max_num_f32 v255, m0, v2 :: v_dual_ashrrev_i32 v7, m0, v3
// GFX1250: v_dual_max_num_f32 v255, m0, v2 :: v_dual_ashrrev_i32 v7, m0, v3 ; encoding: [0x7d,0x60,0x29,0xcf,0x7d,0x00,0x02,0x00,0xff,0x03,0x00,0x07]
// W64-ERR: :[[@LINE-2]]:1: error: instruction requires wavesize=32

v_dual_max_num_f32 v255, vcc_hi, v2 :: v_dual_ashrrev_i32 v7, exec_lo, v3
// GFX1250: v_dual_max_num_f32 v255, vcc_hi, v2 :: v_dual_ashrrev_i32 v7, exec_lo, v3 ; encoding: [0x6b,0x60,0x29,0xcf,0x7e,0x00,0x02,0x00,0xff,0x03,0x00,0x07]
// W64-ERR: :[[@LINE-2]]:1: error: instruction requires wavesize=32

v_dual_max_num_f32 v255, vcc_lo, v2 :: v_dual_ashrrev_i32 v7, exec_hi, v3
// GFX1250: v_dual_max_num_f32 v255, vcc_lo, v2 :: v_dual_ashrrev_i32 v7, exec_hi, v3 ; encoding: [0x6a,0x60,0x29,0xcf,0x7f,0x00,0x02,0x00,0xff,0x03,0x00,0x07]
// W64-ERR: :[[@LINE-2]]:1: error: instruction requires wavesize=32

v_dual_max_num_f32 v255, src_scc, v2 :: v_dual_ashrrev_i32 v7, -1, v3
// GFX1250: v_dual_max_num_f32 v255, src_scc, v2 :: v_dual_ashrrev_i32 v7, -1, v3 ; encoding: [0xfd,0x60,0x29,0xcf,0xc1,0x00,0x02,0x00,0xff,0x03,0x00,0x07]
// W64-ERR: :[[@LINE-2]]:1: error: instruction requires wavesize=32

v_dual_max_num_f32 v255, 0.5, v3 :: v_dual_ashrrev_i32 v7, 0.5, v2
// GFX1250: v_dual_max_num_f32 v255, 0.5, v3 :: v_dual_ashrrev_i32 v7, 0.5, v2 ; encoding: [0xf0,0x60,0x29,0xcf,0xf0,0x00,0x03,0x00,0xff,0x02,0x00,0x07]
// W64-ERR: :[[@LINE-2]]:1: error: instruction requires wavesize=32

v_dual_max_num_f32 v255, -1, v4 :: v_dual_ashrrev_i32 v7, src_scc, v5
// GFX1250: v_dual_max_num_f32 v255, -1, v4 :: v_dual_ashrrev_i32 v7, src_scc, v5 ; encoding: [0xc1,0x60,0x29,0xcf,0xfd,0x00,0x04,0x00,0xff,0x05,0x00,0x07]
// W64-ERR: :[[@LINE-2]]:1: error: instruction requires wavesize=32

v_dual_min_num_f32 v255, v4, v2 :: v_dual_ashrrev_i32 v7, v1, v3
// GFX1250: v_dual_min_num_f32 v255, v4, v2 :: v_dual_ashrrev_i32 v7, v1, v3 ; encoding: [0x04,0x61,0x2d,0xcf,0x01,0x01,0x02,0x00,0xff,0x03,0x00,0x07]
// W64-ERR: :[[@LINE-2]]:1: error: instruction requires wavesize=32

v_dual_min_num_f32 v255, v1, v2 :: v_dual_ashrrev_i32 v7, v255, v3
// GFX1250: v_dual_min_num_f32 v255, v1, v2 :: v_dual_ashrrev_i32 v7, v255, v3 ; encoding: [0x01,0x61,0x2d,0xcf,0xff,0x01,0x02,0x00,0xff,0x03,0x00,0x07]
	;; [unrolled: 4-line block ×7, first 2 shown]
// W64-ERR: :[[@LINE-2]]:1: error: instruction requires wavesize=32

v_dual_min_num_f32 v255, ttmp15, v2 :: v_dual_ashrrev_i32 v7, vcc_lo, v3
// GFX1250: v_dual_min_num_f32 v255, ttmp15, v2 :: v_dual_ashrrev_i32 v7, vcc_lo, v3 ; encoding: [0x7b,0x60,0x2d,0xcf,0x6a,0x00,0x02,0x00,0xff,0x03,0x00,0x07]
// W64-ERR: :[[@LINE-2]]:1: error: instruction requires wavesize=32

v_dual_min_num_f32 v255, exec_hi, v2 :: v_dual_ashrrev_i32 v7, vcc_hi, v3
// GFX1250: v_dual_min_num_f32 v255, exec_hi, v2 :: v_dual_ashrrev_i32 v7, vcc_hi, v3 ; encoding: [0x7f,0x60,0x2d,0xcf,0x6b,0x00,0x02,0x00,0xff,0x03,0x00,0x07]
// W64-ERR: :[[@LINE-2]]:1: error: instruction requires wavesize=32

v_dual_min_num_f32 v255, exec_lo, v2 :: v_dual_ashrrev_i32 v7, ttmp15, v3
// GFX1250: v_dual_min_num_f32 v255, exec_lo, v2 :: v_dual_ashrrev_i32 v7, ttmp15, v3 ; encoding: [0x7e,0x60,0x2d,0xcf,0x7b,0x00,0x02,0x00,0xff,0x03,0x00,0x07]
// W64-ERR: :[[@LINE-2]]:1: error: instruction requires wavesize=32

v_dual_min_num_f32 v255, m0, v2 :: v_dual_ashrrev_i32 v7, m0, v3
// GFX1250: v_dual_min_num_f32 v255, m0, v2 :: v_dual_ashrrev_i32 v7, m0, v3 ; encoding: [0x7d,0x60,0x2d,0xcf,0x7d,0x00,0x02,0x00,0xff,0x03,0x00,0x07]
// W64-ERR: :[[@LINE-2]]:1: error: instruction requires wavesize=32

v_dual_min_num_f32 v255, vcc_hi, v2 :: v_dual_ashrrev_i32 v7, exec_lo, v3
// GFX1250: v_dual_min_num_f32 v255, vcc_hi, v2 :: v_dual_ashrrev_i32 v7, exec_lo, v3 ; encoding: [0x6b,0x60,0x2d,0xcf,0x7e,0x00,0x02,0x00,0xff,0x03,0x00,0x07]
// W64-ERR: :[[@LINE-2]]:1: error: instruction requires wavesize=32

v_dual_min_num_f32 v255, vcc_lo, v2 :: v_dual_ashrrev_i32 v7, exec_hi, v3
// GFX1250: v_dual_min_num_f32 v255, vcc_lo, v2 :: v_dual_ashrrev_i32 v7, exec_hi, v3 ; encoding: [0x6a,0x60,0x2d,0xcf,0x7f,0x00,0x02,0x00,0xff,0x03,0x00,0x07]
// W64-ERR: :[[@LINE-2]]:1: error: instruction requires wavesize=32

v_dual_min_num_f32 v255, src_scc, v2 :: v_dual_ashrrev_i32 v7, -1, v3
// GFX1250: v_dual_min_num_f32 v255, src_scc, v2 :: v_dual_ashrrev_i32 v7, -1, v3 ; encoding: [0xfd,0x60,0x2d,0xcf,0xc1,0x00,0x02,0x00,0xff,0x03,0x00,0x07]
// W64-ERR: :[[@LINE-2]]:1: error: instruction requires wavesize=32

v_dual_min_num_f32 v255, 0.5, v3 :: v_dual_ashrrev_i32 v7, 0.5, v2
// GFX1250: v_dual_min_num_f32 v255, 0.5, v3 :: v_dual_ashrrev_i32 v7, 0.5, v2 ; encoding: [0xf0,0x60,0x2d,0xcf,0xf0,0x00,0x03,0x00,0xff,0x02,0x00,0x07]
// W64-ERR: :[[@LINE-2]]:1: error: instruction requires wavesize=32

v_dual_min_num_f32 v255, -1, v4 :: v_dual_ashrrev_i32 v7, src_scc, v5
// GFX1250: v_dual_min_num_f32 v255, -1, v4 :: v_dual_ashrrev_i32 v7, src_scc, v5 ; encoding: [0xc1,0x60,0x2d,0xcf,0xfd,0x00,0x04,0x00,0xff,0x05,0x00,0x07]
// W64-ERR: :[[@LINE-2]]:1: error: instruction requires wavesize=32

v_dual_mov_b32 v255, v4 :: v_dual_ashrrev_i32 v7, v1, v255
// GFX1250: v_dual_mov_b32 v255, v4 :: v_dual_ashrrev_i32 v7, v1, v255 ; encoding: [0x04,0x61,0x21,0xcf,0x01,0x01,0x00,0x00,0xff,0xff,0x00,0x07]
// W64-ERR: :[[@LINE-2]]:1: error: instruction requires wavesize=32

v_dual_mov_b32 v255, v1 :: v_dual_ashrrev_i32 v7, v255, v255
// GFX1250: v_dual_mov_b32 v255, v1 :: v_dual_ashrrev_i32 v7, v255, v255 ; encoding: [0x01,0x61,0x21,0xcf,0xff,0x01,0x00,0x00,0xff,0xff,0x00,0x07]
	;; [unrolled: 4-line block ×7, first 2 shown]
// W64-ERR: :[[@LINE-2]]:1: error: instruction requires wavesize=32

v_dual_mov_b32 v255, ttmp15 :: v_dual_ashrrev_i32 v7, vcc_lo, v255
// GFX1250: v_dual_mov_b32 v255, ttmp15 :: v_dual_ashrrev_i32 v7, vcc_lo, v255 ; encoding: [0x7b,0x60,0x21,0xcf,0x6a,0x00,0x00,0x00,0xff,0xff,0x00,0x07]
// W64-ERR: :[[@LINE-2]]:1: error: instruction requires wavesize=32

v_dual_mov_b32 v255, exec_hi :: v_dual_ashrrev_i32 v7, vcc_hi, v255
// GFX1250: v_dual_mov_b32 v255, exec_hi :: v_dual_ashrrev_i32 v7, vcc_hi, v255 ; encoding: [0x7f,0x60,0x21,0xcf,0x6b,0x00,0x00,0x00,0xff,0xff,0x00,0x07]
// W64-ERR: :[[@LINE-2]]:1: error: instruction requires wavesize=32

v_dual_mov_b32 v255, exec_lo :: v_dual_ashrrev_i32 v7, ttmp15, v255
// GFX1250: v_dual_mov_b32 v255, exec_lo :: v_dual_ashrrev_i32 v7, ttmp15, v255 ; encoding: [0x7e,0x60,0x21,0xcf,0x7b,0x00,0x00,0x00,0xff,0xff,0x00,0x07]
// W64-ERR: :[[@LINE-2]]:1: error: instruction requires wavesize=32

v_dual_mov_b32 v255, m0 :: v_dual_ashrrev_i32 v7, m0, v255
// GFX1250: v_dual_mov_b32 v255, m0 :: v_dual_ashrrev_i32 v7, m0, v255 ; encoding: [0x7d,0x60,0x21,0xcf,0x7d,0x00,0x00,0x00,0xff,0xff,0x00,0x07]
// W64-ERR: :[[@LINE-2]]:1: error: instruction requires wavesize=32

v_dual_mov_b32 v255, vcc_hi :: v_dual_ashrrev_i32 v7, exec_lo, v255
// GFX1250: v_dual_mov_b32 v255, vcc_hi :: v_dual_ashrrev_i32 v7, exec_lo, v255 ; encoding: [0x6b,0x60,0x21,0xcf,0x7e,0x00,0x00,0x00,0xff,0xff,0x00,0x07]
// W64-ERR: :[[@LINE-2]]:1: error: instruction requires wavesize=32

v_dual_mov_b32 v255, vcc_lo :: v_dual_ashrrev_i32 v7, exec_hi, v255
// GFX1250: v_dual_mov_b32 v255, vcc_lo :: v_dual_ashrrev_i32 v7, exec_hi, v255 ; encoding: [0x6a,0x60,0x21,0xcf,0x7f,0x00,0x00,0x00,0xff,0xff,0x00,0x07]
// W64-ERR: :[[@LINE-2]]:1: error: instruction requires wavesize=32

v_dual_mov_b32 v255, src_scc :: v_dual_ashrrev_i32 v7, -1, v255
// GFX1250: v_dual_mov_b32 v255, src_scc :: v_dual_ashrrev_i32 v7, -1, v255 ; encoding: [0xfd,0x60,0x21,0xcf,0xc1,0x00,0x00,0x00,0xff,0xff,0x00,0x07]
// W64-ERR: :[[@LINE-2]]:1: error: instruction requires wavesize=32

v_dual_mov_b32 v255, 0.5 :: v_dual_ashrrev_i32 v7, 0.5, v3
// GFX1250: v_dual_mov_b32 v255, 0.5 :: v_dual_ashrrev_i32 v7, 0.5, v3 ; encoding: [0xf0,0x60,0x21,0xcf,0xf0,0x00,0x00,0x00,0xff,0x03,0x00,0x07]
// W64-ERR: :[[@LINE-2]]:1: error: instruction requires wavesize=32

v_dual_mov_b32 v255, -1 :: v_dual_ashrrev_i32 v7, src_scc, v4
// GFX1250: v_dual_mov_b32 v255, -1 :: v_dual_ashrrev_i32 v7, src_scc, v4 ; encoding: [0xc1,0x60,0x21,0xcf,0xfd,0x00,0x00,0x00,0xff,0x04,0x00,0x07]
// W64-ERR: :[[@LINE-2]]:1: error: instruction requires wavesize=32

v_dual_mul_dx9_zero_f32 v255, v4, v2 :: v_dual_ashrrev_i32 v7, v1, v3
// GFX1250: v_dual_mul_dx9_zero_f32 v255, v4, v2 :: v_dual_ashrrev_i32 v7, v1, v3 ; encoding: [0x04,0x61,0x1d,0xcf,0x01,0x01,0x02,0x00,0xff,0x03,0x00,0x07]
// W64-ERR: :[[@LINE-2]]:1: error: instruction requires wavesize=32

v_dual_mul_dx9_zero_f32 v255, v1, v2 :: v_dual_ashrrev_i32 v7, v255, v3
// GFX1250: v_dual_mul_dx9_zero_f32 v255, v1, v2 :: v_dual_ashrrev_i32 v7, v255, v3 ; encoding: [0x01,0x61,0x1d,0xcf,0xff,0x01,0x02,0x00,0xff,0x03,0x00,0x07]
	;; [unrolled: 4-line block ×7, first 2 shown]
// W64-ERR: :[[@LINE-2]]:1: error: instruction requires wavesize=32

v_dual_mul_dx9_zero_f32 v255, ttmp15, v2 :: v_dual_ashrrev_i32 v7, vcc_lo, v3
// GFX1250: v_dual_mul_dx9_zero_f32 v255, ttmp15, v2 :: v_dual_ashrrev_i32 v7, vcc_lo, v3 ; encoding: [0x7b,0x60,0x1d,0xcf,0x6a,0x00,0x02,0x00,0xff,0x03,0x00,0x07]
// W64-ERR: :[[@LINE-2]]:1: error: instruction requires wavesize=32

v_dual_mul_dx9_zero_f32 v255, exec_hi, v2 :: v_dual_ashrrev_i32 v7, vcc_hi, v3
// GFX1250: v_dual_mul_dx9_zero_f32 v255, exec_hi, v2 :: v_dual_ashrrev_i32 v7, vcc_hi, v3 ; encoding: [0x7f,0x60,0x1d,0xcf,0x6b,0x00,0x02,0x00,0xff,0x03,0x00,0x07]
// W64-ERR: :[[@LINE-2]]:1: error: instruction requires wavesize=32

v_dual_mul_dx9_zero_f32 v255, exec_lo, v2 :: v_dual_ashrrev_i32 v7, ttmp15, v3
// GFX1250: v_dual_mul_dx9_zero_f32 v255, exec_lo, v2 :: v_dual_ashrrev_i32 v7, ttmp15, v3 ; encoding: [0x7e,0x60,0x1d,0xcf,0x7b,0x00,0x02,0x00,0xff,0x03,0x00,0x07]
// W64-ERR: :[[@LINE-2]]:1: error: instruction requires wavesize=32

v_dual_mul_dx9_zero_f32 v255, m0, v2 :: v_dual_ashrrev_i32 v7, m0, v3
// GFX1250: v_dual_mul_dx9_zero_f32 v255, m0, v2 :: v_dual_ashrrev_i32 v7, m0, v3 ; encoding: [0x7d,0x60,0x1d,0xcf,0x7d,0x00,0x02,0x00,0xff,0x03,0x00,0x07]
// W64-ERR: :[[@LINE-2]]:1: error: instruction requires wavesize=32

v_dual_mul_dx9_zero_f32 v255, vcc_hi, v2 :: v_dual_ashrrev_i32 v7, exec_lo, v3
// GFX1250: v_dual_mul_dx9_zero_f32 v255, vcc_hi, v2 :: v_dual_ashrrev_i32 v7, exec_lo, v3 ; encoding: [0x6b,0x60,0x1d,0xcf,0x7e,0x00,0x02,0x00,0xff,0x03,0x00,0x07]
// W64-ERR: :[[@LINE-2]]:1: error: instruction requires wavesize=32

v_dual_mul_dx9_zero_f32 v255, vcc_lo, v2 :: v_dual_ashrrev_i32 v7, exec_hi, v3
// GFX1250: v_dual_mul_dx9_zero_f32 v255, vcc_lo, v2 :: v_dual_ashrrev_i32 v7, exec_hi, v3 ; encoding: [0x6a,0x60,0x1d,0xcf,0x7f,0x00,0x02,0x00,0xff,0x03,0x00,0x07]
// W64-ERR: :[[@LINE-2]]:1: error: instruction requires wavesize=32

v_dual_mul_dx9_zero_f32 v255, src_scc, v2 :: v_dual_ashrrev_i32 v7, -1, v3
// GFX1250: v_dual_mul_dx9_zero_f32 v255, src_scc, v2 :: v_dual_ashrrev_i32 v7, -1, v3 ; encoding: [0xfd,0x60,0x1d,0xcf,0xc1,0x00,0x02,0x00,0xff,0x03,0x00,0x07]
// W64-ERR: :[[@LINE-2]]:1: error: instruction requires wavesize=32

v_dual_mul_dx9_zero_f32 v255, 0.5, v3 :: v_dual_ashrrev_i32 v7, 0.5, v2
// GFX1250: v_dual_mul_dx9_zero_f32 v255, 0.5, v3 :: v_dual_ashrrev_i32 v7, 0.5, v2 ; encoding: [0xf0,0x60,0x1d,0xcf,0xf0,0x00,0x03,0x00,0xff,0x02,0x00,0x07]
// W64-ERR: :[[@LINE-2]]:1: error: instruction requires wavesize=32

v_dual_mul_dx9_zero_f32 v255, -1, v4 :: v_dual_ashrrev_i32 v7, src_scc, v5
// GFX1250: v_dual_mul_dx9_zero_f32 v255, -1, v4 :: v_dual_ashrrev_i32 v7, src_scc, v5 ; encoding: [0xc1,0x60,0x1d,0xcf,0xfd,0x00,0x04,0x00,0xff,0x05,0x00,0x07]
// W64-ERR: :[[@LINE-2]]:1: error: instruction requires wavesize=32

v_dual_mul_f32 v255, v4, v2 :: v_dual_ashrrev_i32 v7, v1, v3
// GFX1250: v_dual_mul_f32 v255, v4, v2 :: v_dual_ashrrev_i32 v7, v1, v3 ; encoding: [0x04,0x61,0x0d,0xcf,0x01,0x01,0x02,0x00,0xff,0x03,0x00,0x07]
// W64-ERR: :[[@LINE-2]]:1: error: instruction requires wavesize=32

v_dual_mul_f32 v255, v1, v2 :: v_dual_ashrrev_i32 v7, v255, v3
// GFX1250: v_dual_mul_f32 v255, v1, v2 :: v_dual_ashrrev_i32 v7, v255, v3 ; encoding: [0x01,0x61,0x0d,0xcf,0xff,0x01,0x02,0x00,0xff,0x03,0x00,0x07]
// W64-ERR: :[[@LINE-2]]:1: error: instruction requires wavesize=32

v_dual_mul_f32 v255, v255, v2 :: v_dual_ashrrev_i32 v7, v2, v3
// GFX1250: v_dual_mul_f32 v255, v255, v2 :: v_dual_ashrrev_i32 v7, v2, v3 ; encoding: [0xff,0x61,0x0d,0xcf,0x02,0x01,0x02,0x00,0xff,0x03,0x00,0x07]
// W64-ERR: :[[@LINE-2]]:1: error: instruction requires wavesize=32

v_dual_mul_f32 v255, v2, v2 :: v_dual_ashrrev_i32 v7, v3, v3
// GFX1250: v_dual_mul_f32 v255, v2, v2 :: v_dual_ashrrev_i32 v7, v3, v3 ; encoding: [0x02,0x61,0x0d,0xcf,0x03,0x01,0x02,0x00,0xff,0x03,0x00,0x07]
// W64-ERR: :[[@LINE-2]]:1: error: instruction requires wavesize=32

v_dual_mul_f32 v255, v3, v2 :: v_dual_ashrrev_i32 v7, v4, v3
// GFX1250: v_dual_mul_f32 v255, v3, v2 :: v_dual_ashrrev_i32 v7, v4, v3 ; encoding: [0x03,0x61,0x0d,0xcf,0x04,0x01,0x02,0x00,0xff,0x03,0x00,0x07]
// W64-ERR: :[[@LINE-2]]:1: error: instruction requires wavesize=32

v_dual_mul_f32 v255, s105, v2 :: v_dual_ashrrev_i32 v7, s1, v3
// GFX1250: v_dual_mul_f32 v255, s105, v2 :: v_dual_ashrrev_i32 v7, s1, v3 ; encoding: [0x69,0x60,0x0d,0xcf,0x01,0x00,0x02,0x00,0xff,0x03,0x00,0x07]
// W64-ERR: :[[@LINE-2]]:1: error: instruction requires wavesize=32

v_dual_mul_f32 v255, s1, v2 :: v_dual_ashrrev_i32 v7, s105, v3
// GFX1250: v_dual_mul_f32 v255, s1, v2 :: v_dual_ashrrev_i32 v7, s105, v3 ; encoding: [0x01,0x60,0x0d,0xcf,0x69,0x00,0x02,0x00,0xff,0x03,0x00,0x07]
// W64-ERR: :[[@LINE-2]]:1: error: instruction requires wavesize=32

v_dual_mul_f32 v255, ttmp15, v2 :: v_dual_ashrrev_i32 v7, vcc_lo, v3
// GFX1250: v_dual_mul_f32 v255, ttmp15, v2 :: v_dual_ashrrev_i32 v7, vcc_lo, v3 ; encoding: [0x7b,0x60,0x0d,0xcf,0x6a,0x00,0x02,0x00,0xff,0x03,0x00,0x07]
// W64-ERR: :[[@LINE-2]]:1: error: instruction requires wavesize=32

v_dual_mul_f32 v255, exec_hi, v2 :: v_dual_ashrrev_i32 v7, vcc_hi, v3
// GFX1250: v_dual_mul_f32 v255, exec_hi, v2 :: v_dual_ashrrev_i32 v7, vcc_hi, v3 ; encoding: [0x7f,0x60,0x0d,0xcf,0x6b,0x00,0x02,0x00,0xff,0x03,0x00,0x07]
// W64-ERR: :[[@LINE-2]]:1: error: instruction requires wavesize=32

v_dual_mul_f32 v255, exec_lo, v2 :: v_dual_ashrrev_i32 v7, ttmp15, v3
// GFX1250: v_dual_mul_f32 v255, exec_lo, v2 :: v_dual_ashrrev_i32 v7, ttmp15, v3 ; encoding: [0x7e,0x60,0x0d,0xcf,0x7b,0x00,0x02,0x00,0xff,0x03,0x00,0x07]
// W64-ERR: :[[@LINE-2]]:1: error: instruction requires wavesize=32

v_dual_mul_f32 v255, m0, v2 :: v_dual_ashrrev_i32 v7, m0, v3
// GFX1250: v_dual_mul_f32 v255, m0, v2 :: v_dual_ashrrev_i32 v7, m0, v3 ; encoding: [0x7d,0x60,0x0d,0xcf,0x7d,0x00,0x02,0x00,0xff,0x03,0x00,0x07]
// W64-ERR: :[[@LINE-2]]:1: error: instruction requires wavesize=32

v_dual_mul_f32 v255, vcc_hi, v2 :: v_dual_ashrrev_i32 v7, exec_lo, v3
// GFX1250: v_dual_mul_f32 v255, vcc_hi, v2 :: v_dual_ashrrev_i32 v7, exec_lo, v3 ; encoding: [0x6b,0x60,0x0d,0xcf,0x7e,0x00,0x02,0x00,0xff,0x03,0x00,0x07]
// W64-ERR: :[[@LINE-2]]:1: error: instruction requires wavesize=32

v_dual_mul_f32 v255, vcc_lo, v2 :: v_dual_ashrrev_i32 v7, exec_hi, v3
// GFX1250: v_dual_mul_f32 v255, vcc_lo, v2 :: v_dual_ashrrev_i32 v7, exec_hi, v3 ; encoding: [0x6a,0x60,0x0d,0xcf,0x7f,0x00,0x02,0x00,0xff,0x03,0x00,0x07]
// W64-ERR: :[[@LINE-2]]:1: error: instruction requires wavesize=32

v_dual_mul_f32 v255, src_scc, v2 :: v_dual_ashrrev_i32 v7, -1, v3
// GFX1250: v_dual_mul_f32 v255, src_scc, v2 :: v_dual_ashrrev_i32 v7, -1, v3 ; encoding: [0xfd,0x60,0x0d,0xcf,0xc1,0x00,0x02,0x00,0xff,0x03,0x00,0x07]
// W64-ERR: :[[@LINE-2]]:1: error: instruction requires wavesize=32

v_dual_mul_f32 v255, 0.5, v3 :: v_dual_ashrrev_i32 v7, 0.5, v2
// GFX1250: v_dual_mul_f32 v255, 0.5, v3 :: v_dual_ashrrev_i32 v7, 0.5, v2 ; encoding: [0xf0,0x60,0x0d,0xcf,0xf0,0x00,0x03,0x00,0xff,0x02,0x00,0x07]
// W64-ERR: :[[@LINE-2]]:1: error: instruction requires wavesize=32

v_dual_mul_f32 v255, -1, v4 :: v_dual_ashrrev_i32 v7, src_scc, v5
// GFX1250: v_dual_mul_f32 v255, -1, v4 :: v_dual_ashrrev_i32 v7, src_scc, v5 ; encoding: [0xc1,0x60,0x0d,0xcf,0xfd,0x00,0x04,0x00,0xff,0x05,0x00,0x07]
// W64-ERR: :[[@LINE-2]]:1: error: instruction requires wavesize=32

v_dual_sub_f32 v255, v4, v2 :: v_dual_ashrrev_i32 v7, v1, v3
// GFX1250: v_dual_sub_f32 v255, v4, v2 :: v_dual_ashrrev_i32 v7, v1, v3 ; encoding: [0x04,0x61,0x15,0xcf,0x01,0x01,0x02,0x00,0xff,0x03,0x00,0x07]
// W64-ERR: :[[@LINE-2]]:1: error: instruction requires wavesize=32

v_dual_sub_f32 v255, v1, v2 :: v_dual_ashrrev_i32 v7, v255, v3
// GFX1250: v_dual_sub_f32 v255, v1, v2 :: v_dual_ashrrev_i32 v7, v255, v3 ; encoding: [0x01,0x61,0x15,0xcf,0xff,0x01,0x02,0x00,0xff,0x03,0x00,0x07]
	;; [unrolled: 4-line block ×7, first 2 shown]
// W64-ERR: :[[@LINE-2]]:1: error: instruction requires wavesize=32

v_dual_sub_f32 v255, ttmp15, v2 :: v_dual_ashrrev_i32 v7, vcc_lo, v3
// GFX1250: v_dual_sub_f32 v255, ttmp15, v2 :: v_dual_ashrrev_i32 v7, vcc_lo, v3 ; encoding: [0x7b,0x60,0x15,0xcf,0x6a,0x00,0x02,0x00,0xff,0x03,0x00,0x07]
// W64-ERR: :[[@LINE-2]]:1: error: instruction requires wavesize=32

v_dual_sub_f32 v255, exec_hi, v2 :: v_dual_ashrrev_i32 v7, vcc_hi, v3
// GFX1250: v_dual_sub_f32 v255, exec_hi, v2 :: v_dual_ashrrev_i32 v7, vcc_hi, v3 ; encoding: [0x7f,0x60,0x15,0xcf,0x6b,0x00,0x02,0x00,0xff,0x03,0x00,0x07]
// W64-ERR: :[[@LINE-2]]:1: error: instruction requires wavesize=32

v_dual_sub_f32 v255, exec_lo, v2 :: v_dual_ashrrev_i32 v7, ttmp15, v3
// GFX1250: v_dual_sub_f32 v255, exec_lo, v2 :: v_dual_ashrrev_i32 v7, ttmp15, v3 ; encoding: [0x7e,0x60,0x15,0xcf,0x7b,0x00,0x02,0x00,0xff,0x03,0x00,0x07]
// W64-ERR: :[[@LINE-2]]:1: error: instruction requires wavesize=32

v_dual_sub_f32 v255, m0, v2 :: v_dual_ashrrev_i32 v7, m0, v3
// GFX1250: v_dual_sub_f32 v255, m0, v2 :: v_dual_ashrrev_i32 v7, m0, v3 ; encoding: [0x7d,0x60,0x15,0xcf,0x7d,0x00,0x02,0x00,0xff,0x03,0x00,0x07]
// W64-ERR: :[[@LINE-2]]:1: error: instruction requires wavesize=32

v_dual_sub_f32 v255, vcc_hi, v2 :: v_dual_ashrrev_i32 v7, exec_lo, v3
// GFX1250: v_dual_sub_f32 v255, vcc_hi, v2 :: v_dual_ashrrev_i32 v7, exec_lo, v3 ; encoding: [0x6b,0x60,0x15,0xcf,0x7e,0x00,0x02,0x00,0xff,0x03,0x00,0x07]
// W64-ERR: :[[@LINE-2]]:1: error: instruction requires wavesize=32

v_dual_sub_f32 v255, vcc_lo, v2 :: v_dual_ashrrev_i32 v7, exec_hi, v3
// GFX1250: v_dual_sub_f32 v255, vcc_lo, v2 :: v_dual_ashrrev_i32 v7, exec_hi, v3 ; encoding: [0x6a,0x60,0x15,0xcf,0x7f,0x00,0x02,0x00,0xff,0x03,0x00,0x07]
// W64-ERR: :[[@LINE-2]]:1: error: instruction requires wavesize=32

v_dual_sub_f32 v255, src_scc, v2 :: v_dual_ashrrev_i32 v7, -1, v3
// GFX1250: v_dual_sub_f32 v255, src_scc, v2 :: v_dual_ashrrev_i32 v7, -1, v3 ; encoding: [0xfd,0x60,0x15,0xcf,0xc1,0x00,0x02,0x00,0xff,0x03,0x00,0x07]
// W64-ERR: :[[@LINE-2]]:1: error: instruction requires wavesize=32

v_dual_sub_f32 v255, 0.5, v3 :: v_dual_ashrrev_i32 v7, 0.5, v2
// GFX1250: v_dual_sub_f32 v255, 0.5, v3 :: v_dual_ashrrev_i32 v7, 0.5, v2 ; encoding: [0xf0,0x60,0x15,0xcf,0xf0,0x00,0x03,0x00,0xff,0x02,0x00,0x07]
// W64-ERR: :[[@LINE-2]]:1: error: instruction requires wavesize=32

v_dual_sub_f32 v255, -1, v4 :: v_dual_ashrrev_i32 v7, src_scc, v5
// GFX1250: v_dual_sub_f32 v255, -1, v4 :: v_dual_ashrrev_i32 v7, src_scc, v5 ; encoding: [0xc1,0x60,0x15,0xcf,0xfd,0x00,0x04,0x00,0xff,0x05,0x00,0x07]
// W64-ERR: :[[@LINE-2]]:1: error: instruction requires wavesize=32

v_dual_subrev_f32 v255, v4, v2 :: v_dual_ashrrev_i32 v7, v1, v3
// GFX1250: v_dual_subrev_f32 v255, v4, v2 :: v_dual_ashrrev_i32 v7, v1, v3 ; encoding: [0x04,0x61,0x19,0xcf,0x01,0x01,0x02,0x00,0xff,0x03,0x00,0x07]
// W64-ERR: :[[@LINE-2]]:1: error: instruction requires wavesize=32

v_dual_subrev_f32 v255, v1, v2 :: v_dual_ashrrev_i32 v7, v255, v3
// GFX1250: v_dual_subrev_f32 v255, v1, v2 :: v_dual_ashrrev_i32 v7, v255, v3 ; encoding: [0x01,0x61,0x19,0xcf,0xff,0x01,0x02,0x00,0xff,0x03,0x00,0x07]
	;; [unrolled: 4-line block ×7, first 2 shown]
// W64-ERR: :[[@LINE-2]]:1: error: instruction requires wavesize=32

v_dual_subrev_f32 v255, ttmp15, v2 :: v_dual_ashrrev_i32 v7, vcc_lo, v3
// GFX1250: v_dual_subrev_f32 v255, ttmp15, v2 :: v_dual_ashrrev_i32 v7, vcc_lo, v3 ; encoding: [0x7b,0x60,0x19,0xcf,0x6a,0x00,0x02,0x00,0xff,0x03,0x00,0x07]
// W64-ERR: :[[@LINE-2]]:1: error: instruction requires wavesize=32

v_dual_subrev_f32 v255, exec_hi, v2 :: v_dual_ashrrev_i32 v7, vcc_hi, v3
// GFX1250: v_dual_subrev_f32 v255, exec_hi, v2 :: v_dual_ashrrev_i32 v7, vcc_hi, v3 ; encoding: [0x7f,0x60,0x19,0xcf,0x6b,0x00,0x02,0x00,0xff,0x03,0x00,0x07]
// W64-ERR: :[[@LINE-2]]:1: error: instruction requires wavesize=32

v_dual_subrev_f32 v255, exec_lo, v2 :: v_dual_ashrrev_i32 v7, ttmp15, v3
// GFX1250: v_dual_subrev_f32 v255, exec_lo, v2 :: v_dual_ashrrev_i32 v7, ttmp15, v3 ; encoding: [0x7e,0x60,0x19,0xcf,0x7b,0x00,0x02,0x00,0xff,0x03,0x00,0x07]
// W64-ERR: :[[@LINE-2]]:1: error: instruction requires wavesize=32

v_dual_subrev_f32 v255, m0, v2 :: v_dual_ashrrev_i32 v7, m0, v3
// GFX1250: v_dual_subrev_f32 v255, m0, v2 :: v_dual_ashrrev_i32 v7, m0, v3 ; encoding: [0x7d,0x60,0x19,0xcf,0x7d,0x00,0x02,0x00,0xff,0x03,0x00,0x07]
// W64-ERR: :[[@LINE-2]]:1: error: instruction requires wavesize=32

v_dual_subrev_f32 v255, vcc_hi, v2 :: v_dual_ashrrev_i32 v7, exec_lo, v3
// GFX1250: v_dual_subrev_f32 v255, vcc_hi, v2 :: v_dual_ashrrev_i32 v7, exec_lo, v3 ; encoding: [0x6b,0x60,0x19,0xcf,0x7e,0x00,0x02,0x00,0xff,0x03,0x00,0x07]
// W64-ERR: :[[@LINE-2]]:1: error: instruction requires wavesize=32

v_dual_subrev_f32 v255, vcc_lo, v2 :: v_dual_ashrrev_i32 v7, exec_hi, v3
// GFX1250: v_dual_subrev_f32 v255, vcc_lo, v2 :: v_dual_ashrrev_i32 v7, exec_hi, v3 ; encoding: [0x6a,0x60,0x19,0xcf,0x7f,0x00,0x02,0x00,0xff,0x03,0x00,0x07]
// W64-ERR: :[[@LINE-2]]:1: error: instruction requires wavesize=32

v_dual_subrev_f32 v255, src_scc, v2 :: v_dual_ashrrev_i32 v7, -1, v3
// GFX1250: v_dual_subrev_f32 v255, src_scc, v2 :: v_dual_ashrrev_i32 v7, -1, v3 ; encoding: [0xfd,0x60,0x19,0xcf,0xc1,0x00,0x02,0x00,0xff,0x03,0x00,0x07]
// W64-ERR: :[[@LINE-2]]:1: error: instruction requires wavesize=32

v_dual_subrev_f32 v255, 0.5, v3 :: v_dual_ashrrev_i32 v7, 0.5, v2
// GFX1250: v_dual_subrev_f32 v255, 0.5, v3 :: v_dual_ashrrev_i32 v7, 0.5, v2 ; encoding: [0xf0,0x60,0x19,0xcf,0xf0,0x00,0x03,0x00,0xff,0x02,0x00,0x07]
// W64-ERR: :[[@LINE-2]]:1: error: instruction requires wavesize=32

v_dual_subrev_f32 v255, -1, v4 :: v_dual_ashrrev_i32 v7, src_scc, v5
// GFX1250: v_dual_subrev_f32 v255, -1, v4 :: v_dual_ashrrev_i32 v7, src_scc, v5 ; encoding: [0xc1,0x60,0x19,0xcf,0xfd,0x00,0x04,0x00,0xff,0x05,0x00,0x07]
// W64-ERR: :[[@LINE-2]]:1: error: instruction requires wavesize=32

v_dual_add_nc_u32 v254, v4, v2 :: v_dual_add_f32 v7, v1, v3
// GFX1250: v_dual_add_nc_u32 v254, v4, v2 :: v_dual_add_f32 v7, v1, v3 ; encoding: [0x04,0x41,0x40,0xcf,0x01,0x01,0x02,0x00,0xfe,0x03,0x00,0x07]
// W64-ERR: :[[@LINE-2]]:1: error: instruction requires wavesize=32

v_dual_add_nc_u32 v255, v1, v2 :: v_dual_add_f32 v7, v255, v3
// GFX1250: v_dual_add_nc_u32 v255, v1, v2 :: v_dual_add_f32 v7, v255, v3 ; encoding: [0x01,0x41,0x40,0xcf,0xff,0x01,0x02,0x00,0xff,0x03,0x00,0x07]
// W64-ERR: :[[@LINE-2]]:1: error: instruction requires wavesize=32

v_dual_add_nc_u32 v255, v255, v2 :: v_dual_add_f32 v7, v2, v3
// GFX1250: v_dual_add_nc_u32 v255, v255, v2 :: v_dual_add_f32 v7, v2, v3 ; encoding: [0xff,0x41,0x40,0xcf,0x02,0x01,0x02,0x00,0xff,0x03,0x00,0x07]
// W64-ERR: :[[@LINE-2]]:1: error: instruction requires wavesize=32

v_dual_add_nc_u32 v255, v2, v2 :: v_dual_add_f32 v7, v3, v3
// GFX1250: v_dual_add_nc_u32 v255, v2, v2 :: v_dual_add_f32 v7, v3, v3 ; encoding: [0x02,0x41,0x40,0xcf,0x03,0x01,0x02,0x00,0xff,0x03,0x00,0x07]
// W64-ERR: :[[@LINE-2]]:1: error: instruction requires wavesize=32

v_dual_add_nc_u32 v255, v3, v2 :: v_dual_add_f32 v7, v4, v3
// GFX1250: v_dual_add_nc_u32 v255, v3, v2 :: v_dual_add_f32 v7, v4, v3 ; encoding: [0x03,0x41,0x40,0xcf,0x04,0x01,0x02,0x00,0xff,0x03,0x00,0x07]
// W64-ERR: :[[@LINE-2]]:1: error: instruction requires wavesize=32

v_dual_add_nc_u32 v255, s105, v2 :: v_dual_add_f32 v7, s1, v3
// GFX1250: v_dual_add_nc_u32 v255, s105, v2 :: v_dual_add_f32 v7, s1, v3 ; encoding: [0x69,0x40,0x40,0xcf,0x01,0x00,0x02,0x00,0xff,0x03,0x00,0x07]
// W64-ERR: :[[@LINE-2]]:1: error: instruction requires wavesize=32

v_dual_add_nc_u32 v255, s1, v2 :: v_dual_add_f32 v7, s105, v3
// GFX1250: v_dual_add_nc_u32 v255, s1, v2 :: v_dual_add_f32 v7, s105, v3 ; encoding: [0x01,0x40,0x40,0xcf,0x69,0x00,0x02,0x00,0xff,0x03,0x00,0x07]
// W64-ERR: :[[@LINE-2]]:1: error: instruction requires wavesize=32

v_dual_add_nc_u32 v255, ttmp15, v2 :: v_dual_add_f32 v7, vcc_lo, v3
// GFX1250: v_dual_add_nc_u32 v255, ttmp15, v2 :: v_dual_add_f32 v7, vcc_lo, v3 ; encoding: [0x7b,0x40,0x40,0xcf,0x6a,0x00,0x02,0x00,0xff,0x03,0x00,0x07]
// W64-ERR: :[[@LINE-2]]:1: error: instruction requires wavesize=32

v_dual_add_nc_u32 v255, exec_hi, v2 :: v_dual_add_f32 v7, vcc_hi, v3
// GFX1250: v_dual_add_nc_u32 v255, exec_hi, v2 :: v_dual_add_f32 v7, vcc_hi, v3 ; encoding: [0x7f,0x40,0x40,0xcf,0x6b,0x00,0x02,0x00,0xff,0x03,0x00,0x07]
// W64-ERR: :[[@LINE-2]]:1: error: instruction requires wavesize=32

v_dual_add_nc_u32 v255, exec_lo, v2 :: v_dual_add_f32 v7, ttmp15, v3
// GFX1250: v_dual_add_nc_u32 v255, exec_lo, v2 :: v_dual_add_f32 v7, ttmp15, v3 ; encoding: [0x7e,0x40,0x40,0xcf,0x7b,0x00,0x02,0x00,0xff,0x03,0x00,0x07]
// W64-ERR: :[[@LINE-2]]:1: error: instruction requires wavesize=32

v_dual_add_nc_u32 v255, m0, v2 :: v_dual_add_f32 v7, m0, v3
// GFX1250: v_dual_add_nc_u32 v255, m0, v2 :: v_dual_add_f32 v7, m0, v3 ; encoding: [0x7d,0x40,0x40,0xcf,0x7d,0x00,0x02,0x00,0xff,0x03,0x00,0x07]
// W64-ERR: :[[@LINE-2]]:1: error: instruction requires wavesize=32

v_dual_add_nc_u32 v255, vcc_hi, v2 :: v_dual_add_f32 v7, exec_lo, v3
// GFX1250: v_dual_add_nc_u32 v255, vcc_hi, v2 :: v_dual_add_f32 v7, exec_lo, v3 ; encoding: [0x6b,0x40,0x40,0xcf,0x7e,0x00,0x02,0x00,0xff,0x03,0x00,0x07]
// W64-ERR: :[[@LINE-2]]:1: error: instruction requires wavesize=32

v_dual_add_nc_u32 v255, vcc_lo, v2 :: v_dual_add_f32 v7, exec_hi, v3
// GFX1250: v_dual_add_nc_u32 v255, vcc_lo, v2 :: v_dual_add_f32 v7, exec_hi, v3 ; encoding: [0x6a,0x40,0x40,0xcf,0x7f,0x00,0x02,0x00,0xff,0x03,0x00,0x07]
// W64-ERR: :[[@LINE-2]]:1: error: instruction requires wavesize=32

v_dual_add_nc_u32 v255, src_scc, v2 :: v_dual_add_f32 v7, -1, v3
// GFX1250: v_dual_add_nc_u32 v255, src_scc, v2 :: v_dual_add_f32 v7, -1, v3 ; encoding: [0xfd,0x40,0x40,0xcf,0xc1,0x00,0x02,0x00,0xff,0x03,0x00,0x07]
// W64-ERR: :[[@LINE-2]]:1: error: instruction requires wavesize=32

v_dual_add_nc_u32 v255, 0.5, v3 :: v_dual_add_f32 v7, 0.5, v2
// GFX1250: v_dual_add_nc_u32 v255, 0.5, v3 :: v_dual_add_f32 v7, 0.5, v2 ; encoding: [0xf0,0x40,0x40,0xcf,0xf0,0x00,0x03,0x00,0xff,0x02,0x00,0x07]
// W64-ERR: :[[@LINE-2]]:1: error: instruction requires wavesize=32

v_dual_add_nc_u32 v255, -1, v4 :: v_dual_add_f32 v7, src_scc, v5
// GFX1250: v_dual_add_nc_u32 v255, -1, v4 :: v_dual_add_f32 v7, src_scc, v5 ; encoding: [0xc1,0x40,0x40,0xcf,0xfd,0x00,0x04,0x00,0xff,0x05,0x00,0x07]
// W64-ERR: :[[@LINE-2]]:1: error: instruction requires wavesize=32

v_dual_add_nc_u32 v255, v4, v2 :: v_dual_add_nc_u32 v7, v1, v3
// GFX1250: v_dual_add_nc_u32 v255, v4, v2 :: v_dual_add_nc_u32 v7, v1, v3 ; encoding: [0x04,0x01,0x41,0xcf,0x01,0x01,0x02,0x00,0xff,0x03,0x00,0x07]
// W64-ERR: :[[@LINE-2]]:1: error: instruction requires wavesize=32

v_dual_add_nc_u32 v255, v1, v2 :: v_dual_add_nc_u32 v7, v255, v3
// GFX1250: v_dual_add_nc_u32 v255, v1, v2 :: v_dual_add_nc_u32 v7, v255, v3 ; encoding: [0x01,0x01,0x41,0xcf,0xff,0x01,0x02,0x00,0xff,0x03,0x00,0x07]
	;; [unrolled: 4-line block ×7, first 2 shown]
// W64-ERR: :[[@LINE-2]]:1: error: instruction requires wavesize=32

v_dual_add_nc_u32 v255, ttmp15, v2 :: v_dual_add_nc_u32 v7, vcc_lo, v3
// GFX1250: v_dual_add_nc_u32 v255, ttmp15, v2 :: v_dual_add_nc_u32 v7, vcc_lo, v3 ; encoding: [0x7b,0x00,0x41,0xcf,0x6a,0x00,0x02,0x00,0xff,0x03,0x00,0x07]
// W64-ERR: :[[@LINE-2]]:1: error: instruction requires wavesize=32

v_dual_add_nc_u32 v255, exec_hi, v2 :: v_dual_add_nc_u32 v7, vcc_hi, v3
// GFX1250: v_dual_add_nc_u32 v255, exec_hi, v2 :: v_dual_add_nc_u32 v7, vcc_hi, v3 ; encoding: [0x7f,0x00,0x41,0xcf,0x6b,0x00,0x02,0x00,0xff,0x03,0x00,0x07]
// W64-ERR: :[[@LINE-2]]:1: error: instruction requires wavesize=32

v_dual_add_nc_u32 v255, exec_lo, v2 :: v_dual_add_nc_u32 v7, ttmp15, v3
// GFX1250: v_dual_add_nc_u32 v255, exec_lo, v2 :: v_dual_add_nc_u32 v7, ttmp15, v3 ; encoding: [0x7e,0x00,0x41,0xcf,0x7b,0x00,0x02,0x00,0xff,0x03,0x00,0x07]
// W64-ERR: :[[@LINE-2]]:1: error: instruction requires wavesize=32

v_dual_add_nc_u32 v255, m0, v2 :: v_dual_add_nc_u32 v7, m0, v3
// GFX1250: v_dual_add_nc_u32 v255, m0, v2 :: v_dual_add_nc_u32 v7, m0, v3 ; encoding: [0x7d,0x00,0x41,0xcf,0x7d,0x00,0x02,0x00,0xff,0x03,0x00,0x07]
// W64-ERR: :[[@LINE-2]]:1: error: instruction requires wavesize=32

v_dual_add_nc_u32 v255, vcc_hi, v2 :: v_dual_add_nc_u32 v7, exec_lo, v3
// GFX1250: v_dual_add_nc_u32 v255, vcc_hi, v2 :: v_dual_add_nc_u32 v7, exec_lo, v3 ; encoding: [0x6b,0x00,0x41,0xcf,0x7e,0x00,0x02,0x00,0xff,0x03,0x00,0x07]
// W64-ERR: :[[@LINE-2]]:1: error: instruction requires wavesize=32

v_dual_add_nc_u32 v255, vcc_lo, v2 :: v_dual_add_nc_u32 v7, exec_hi, v3
// GFX1250: v_dual_add_nc_u32 v255, vcc_lo, v2 :: v_dual_add_nc_u32 v7, exec_hi, v3 ; encoding: [0x6a,0x00,0x41,0xcf,0x7f,0x00,0x02,0x00,0xff,0x03,0x00,0x07]
// W64-ERR: :[[@LINE-2]]:1: error: instruction requires wavesize=32

v_dual_add_nc_u32 v255, src_scc, v2 :: v_dual_add_nc_u32 v7, -1, v3
// GFX1250: v_dual_add_nc_u32 v255, src_scc, v2 :: v_dual_add_nc_u32 v7, -1, v3 ; encoding: [0xfd,0x00,0x41,0xcf,0xc1,0x00,0x02,0x00,0xff,0x03,0x00,0x07]
// W64-ERR: :[[@LINE-2]]:1: error: instruction requires wavesize=32

v_dual_add_nc_u32 v255, 0.5, v3 :: v_dual_add_nc_u32 v7, 0.5, v2
// GFX1250: v_dual_add_nc_u32 v255, 0.5, v3 :: v_dual_add_nc_u32 v7, 0.5, v2 ; encoding: [0xf0,0x00,0x41,0xcf,0xf0,0x00,0x03,0x00,0xff,0x02,0x00,0x07]
// W64-ERR: :[[@LINE-2]]:1: error: instruction requires wavesize=32

v_dual_add_nc_u32 v255, -1, v4 :: v_dual_add_nc_u32 v7, src_scc, v5
// GFX1250: v_dual_add_nc_u32 v255, -1, v4 :: v_dual_add_nc_u32 v7, src_scc, v5 ; encoding: [0xc1,0x00,0x41,0xcf,0xfd,0x00,0x04,0x00,0xff,0x05,0x00,0x07]
// W64-ERR: :[[@LINE-2]]:1: error: instruction requires wavesize=32

v_dual_add_nc_u32 v255, v4, v2 :: v_dual_cndmask_b32 v7, v1, v3, vcc_lo
// GFX1250: v_dual_add_nc_u32 v255, v4, v2 :: v_dual_cndmask_b32 v7, v1, v3, vcc_lo ; encoding: [0x04,0x91,0x40,0xcf,0x01,0x01,0x02,0x00,0xff,0x03,0x6a,0x07]
// W64-ERR: :[[@LINE-2]]:1: error: instruction requires wavesize=32

v_dual_add_nc_u32 v255, v1, v2 :: v_dual_cndmask_b32 v7, v255, v3, vcc_lo
// GFX1250: v_dual_add_nc_u32 v255, v1, v2 :: v_dual_cndmask_b32 v7, v255, v3, vcc_lo ; encoding: [0x01,0x91,0x40,0xcf,0xff,0x01,0x02,0x00,0xff,0x03,0x6a,0x07]
	;; [unrolled: 4-line block ×7, first 2 shown]
// W64-ERR: :[[@LINE-2]]:1: error: instruction requires wavesize=32

v_dual_add_nc_u32 v255, ttmp15, v2 :: v_dual_cndmask_b32 v7, ttmp15, v3, vcc_lo
// GFX1250: v_dual_add_nc_u32 v255, ttmp15, v2 :: v_dual_cndmask_b32 v7, ttmp15, v3, vcc_lo ; encoding: [0x7b,0x90,0x40,0xcf,0x7b,0x00,0x02,0x00,0xff,0x03,0x6a,0x07]
// W64-ERR: :[[@LINE-2]]:1: error: instruction requires wavesize=32

v_dual_add_nc_u32 v255, exec_hi, v2 :: v_dual_cndmask_b32 v7, exec_hi, v3, vcc_lo
// GFX1250: v_dual_add_nc_u32 v255, exec_hi, v2 :: v_dual_cndmask_b32 v7, exec_hi, v3, vcc_lo ; encoding: [0x7f,0x90,0x40,0xcf,0x7f,0x00,0x02,0x00,0xff,0x03,0x6a,0x07]
// W64-ERR: :[[@LINE-2]]:1: error: instruction requires wavesize=32

v_dual_add_nc_u32 v255, exec_lo, v2 :: v_dual_cndmask_b32 v7, exec_lo, v3, vcc_lo
// GFX1250: v_dual_add_nc_u32 v255, exec_lo, v2 :: v_dual_cndmask_b32 v7, exec_lo, v3, vcc_lo ; encoding: [0x7e,0x90,0x40,0xcf,0x7e,0x00,0x02,0x00,0xff,0x03,0x6a,0x07]
// W64-ERR: :[[@LINE-2]]:1: error: instruction requires wavesize=32

v_dual_add_nc_u32 v255, m0, v2 :: v_dual_cndmask_b32 v7, m0, v3, vcc_lo
// GFX1250: v_dual_add_nc_u32 v255, m0, v2 :: v_dual_cndmask_b32 v7, m0, v3, vcc_lo ; encoding: [0x7d,0x90,0x40,0xcf,0x7d,0x00,0x02,0x00,0xff,0x03,0x6a,0x07]
// W64-ERR: :[[@LINE-2]]:1: error: instruction requires wavesize=32

v_dual_add_nc_u32 v255, vcc_hi, v2 :: v_dual_cndmask_b32 v7, vcc_hi, v3, vcc_lo
// GFX1250: v_dual_add_nc_u32 v255, vcc_hi, v2 :: v_dual_cndmask_b32 v7, vcc_hi, v3, vcc_lo ; encoding: [0x6b,0x90,0x40,0xcf,0x6b,0x00,0x02,0x00,0xff,0x03,0x6a,0x07]
// W64-ERR: :[[@LINE-2]]:1: error: instruction requires wavesize=32

v_dual_add_nc_u32 v255, vcc_lo, v2 :: v_dual_cndmask_b32 v7, vcc_lo, v3, vcc_lo
// GFX1250: v_dual_add_nc_u32 v255, vcc_lo, v2 :: v_dual_cndmask_b32 v7, vcc_lo, v3, vcc_lo ; encoding: [0x6a,0x90,0x40,0xcf,0x6a,0x00,0x02,0x00,0xff,0x03,0x6a,0x07]
// W64-ERR: :[[@LINE-2]]:1: error: instruction requires wavesize=32

v_dual_add_nc_u32 v255, src_scc, v2 :: v_dual_cndmask_b32 v7, -1, v3, vcc_lo
// GFX1250: v_dual_add_nc_u32 v255, src_scc, v2 :: v_dual_cndmask_b32 v7, -1, v3, vcc_lo ; encoding: [0xfd,0x90,0x40,0xcf,0xc1,0x00,0x02,0x00,0xff,0x03,0x6a,0x07]
// W64-ERR: :[[@LINE-2]]:1: error: instruction requires wavesize=32

v_dual_add_nc_u32 v255, 0.5, v3 :: v_dual_cndmask_b32 v7, 0.5, v2, vcc_lo
// GFX1250: v_dual_add_nc_u32 v255, 0.5, v3 :: v_dual_cndmask_b32 v7, 0.5, v2, vcc_lo ; encoding: [0xf0,0x90,0x40,0xcf,0xf0,0x00,0x03,0x00,0xff,0x02,0x6a,0x07]
// W64-ERR: :[[@LINE-2]]:1: error: instruction requires wavesize=32

v_dual_add_nc_u32 v255, -1, v4 :: v_dual_cndmask_b32 v7, src_scc, v5, vcc_lo
// GFX1250: v_dual_add_nc_u32 v255, -1, v4 :: v_dual_cndmask_b32 v7, src_scc, v5, vcc_lo ; encoding: [0xc1,0x90,0x40,0xcf,0xfd,0x00,0x04,0x00,0xff,0x05,0x6a,0x07]
// W64-ERR: :[[@LINE-2]]:1: error: instruction requires wavesize=32

v_dual_add_nc_u32 v255, v4, v2 :: v_dual_fmac_f32 v7, v1, v3
// GFX1250: v_dual_add_nc_u32 v255, v4, v2 :: v_dual_fmac_f32 v7, v1, v3 ; encoding: [0x04,0x01,0x40,0xcf,0x01,0x01,0x02,0x00,0xff,0x03,0x00,0x07]
// W64-ERR: :[[@LINE-2]]:1: error: instruction requires wavesize=32

v_dual_add_nc_u32 v255, v1, v2 :: v_dual_fmac_f32 v7, v255, v3
// GFX1250: v_dual_add_nc_u32 v255, v1, v2 :: v_dual_fmac_f32 v7, v255, v3 ; encoding: [0x01,0x01,0x40,0xcf,0xff,0x01,0x02,0x00,0xff,0x03,0x00,0x07]
	;; [unrolled: 4-line block ×7, first 2 shown]
// W64-ERR: :[[@LINE-2]]:1: error: instruction requires wavesize=32

v_dual_add_nc_u32 v255, ttmp15, v2 :: v_dual_fmac_f32 v7, vcc_lo, v3
// GFX1250: v_dual_add_nc_u32 v255, ttmp15, v2 :: v_dual_fmac_f32 v7, vcc_lo, v3 ; encoding: [0x7b,0x00,0x40,0xcf,0x6a,0x00,0x02,0x00,0xff,0x03,0x00,0x07]
// W64-ERR: :[[@LINE-2]]:1: error: instruction requires wavesize=32

v_dual_add_nc_u32 v255, exec_hi, v2 :: v_dual_fmac_f32 v7, vcc_hi, v3
// GFX1250: v_dual_add_nc_u32 v255, exec_hi, v2 :: v_dual_fmac_f32 v7, vcc_hi, v3 ; encoding: [0x7f,0x00,0x40,0xcf,0x6b,0x00,0x02,0x00,0xff,0x03,0x00,0x07]
// W64-ERR: :[[@LINE-2]]:1: error: instruction requires wavesize=32

v_dual_add_nc_u32 v255, exec_lo, v2 :: v_dual_fmac_f32 v7, ttmp15, v3
// GFX1250: v_dual_add_nc_u32 v255, exec_lo, v2 :: v_dual_fmac_f32 v7, ttmp15, v3 ; encoding: [0x7e,0x00,0x40,0xcf,0x7b,0x00,0x02,0x00,0xff,0x03,0x00,0x07]
// W64-ERR: :[[@LINE-2]]:1: error: instruction requires wavesize=32

v_dual_add_nc_u32 v255, m0, v2 :: v_dual_fmac_f32 v7, m0, v3
// GFX1250: v_dual_add_nc_u32 v255, m0, v2 :: v_dual_fmac_f32 v7, m0, v3 ; encoding: [0x7d,0x00,0x40,0xcf,0x7d,0x00,0x02,0x00,0xff,0x03,0x00,0x07]
// W64-ERR: :[[@LINE-2]]:1: error: instruction requires wavesize=32

v_dual_add_nc_u32 v255, vcc_hi, v2 :: v_dual_fmac_f32 v7, exec_lo, v3
// GFX1250: v_dual_add_nc_u32 v255, vcc_hi, v2 :: v_dual_fmac_f32 v7, exec_lo, v3 ; encoding: [0x6b,0x00,0x40,0xcf,0x7e,0x00,0x02,0x00,0xff,0x03,0x00,0x07]
// W64-ERR: :[[@LINE-2]]:1: error: instruction requires wavesize=32

v_dual_add_nc_u32 v255, vcc_lo, v2 :: v_dual_fmac_f32 v7, exec_hi, v3
// GFX1250: v_dual_add_nc_u32 v255, vcc_lo, v2 :: v_dual_fmac_f32 v7, exec_hi, v3 ; encoding: [0x6a,0x00,0x40,0xcf,0x7f,0x00,0x02,0x00,0xff,0x03,0x00,0x07]
// W64-ERR: :[[@LINE-2]]:1: error: instruction requires wavesize=32

v_dual_add_nc_u32 v255, src_scc, v2 :: v_dual_fmac_f32 v7, -1, v3
// GFX1250: v_dual_add_nc_u32 v255, src_scc, v2 :: v_dual_fmac_f32 v7, -1, v3 ; encoding: [0xfd,0x00,0x40,0xcf,0xc1,0x00,0x02,0x00,0xff,0x03,0x00,0x07]
// W64-ERR: :[[@LINE-2]]:1: error: instruction requires wavesize=32

v_dual_add_nc_u32 v255, 0.5, v3 :: v_dual_fmac_f32 v7, 0.5, v2
// GFX1250: v_dual_add_nc_u32 v255, 0.5, v3 :: v_dual_fmac_f32 v7, 0.5, v2 ; encoding: [0xf0,0x00,0x40,0xcf,0xf0,0x00,0x03,0x00,0xff,0x02,0x00,0x07]
// W64-ERR: :[[@LINE-2]]:1: error: instruction requires wavesize=32

v_dual_add_nc_u32 v255, -1, v4 :: v_dual_fmac_f32 v7, src_scc, v5
// GFX1250: v_dual_add_nc_u32 v255, -1, v4 :: v_dual_fmac_f32 v7, src_scc, v5 ; encoding: [0xc1,0x00,0x40,0xcf,0xfd,0x00,0x04,0x00,0xff,0x05,0x00,0x07]
// W64-ERR: :[[@LINE-2]]:1: error: instruction requires wavesize=32

v_dual_add_nc_u32 v255, v4, v2 :: v_dual_lshlrev_b32 v7, v1, v3
// GFX1250: v_dual_add_nc_u32 v255, v4, v2 :: v_dual_lshlrev_b32 v7, v1, v3 ; encoding: [0x04,0x11,0x41,0xcf,0x01,0x01,0x02,0x00,0xff,0x03,0x00,0x07]
// W64-ERR: :[[@LINE-2]]:1: error: instruction requires wavesize=32

v_dual_add_nc_u32 v255, v1, v2 :: v_dual_lshlrev_b32 v7, v255, v3
// GFX1250: v_dual_add_nc_u32 v255, v1, v2 :: v_dual_lshlrev_b32 v7, v255, v3 ; encoding: [0x01,0x11,0x41,0xcf,0xff,0x01,0x02,0x00,0xff,0x03,0x00,0x07]
	;; [unrolled: 4-line block ×7, first 2 shown]
// W64-ERR: :[[@LINE-2]]:1: error: instruction requires wavesize=32

v_dual_add_nc_u32 v255, ttmp15, v2 :: v_dual_lshlrev_b32 v7, vcc_lo, v3
// GFX1250: v_dual_add_nc_u32 v255, ttmp15, v2 :: v_dual_lshlrev_b32 v7, vcc_lo, v3 ; encoding: [0x7b,0x10,0x41,0xcf,0x6a,0x00,0x02,0x00,0xff,0x03,0x00,0x07]
// W64-ERR: :[[@LINE-2]]:1: error: instruction requires wavesize=32

v_dual_add_nc_u32 v255, exec_hi, v2 :: v_dual_lshlrev_b32 v7, vcc_hi, v3
// GFX1250: v_dual_add_nc_u32 v255, exec_hi, v2 :: v_dual_lshlrev_b32 v7, vcc_hi, v3 ; encoding: [0x7f,0x10,0x41,0xcf,0x6b,0x00,0x02,0x00,0xff,0x03,0x00,0x07]
// W64-ERR: :[[@LINE-2]]:1: error: instruction requires wavesize=32

v_dual_add_nc_u32 v255, exec_lo, v2 :: v_dual_lshlrev_b32 v7, ttmp15, v3
// GFX1250: v_dual_add_nc_u32 v255, exec_lo, v2 :: v_dual_lshlrev_b32 v7, ttmp15, v3 ; encoding: [0x7e,0x10,0x41,0xcf,0x7b,0x00,0x02,0x00,0xff,0x03,0x00,0x07]
// W64-ERR: :[[@LINE-2]]:1: error: instruction requires wavesize=32

v_dual_add_nc_u32 v255, m0, v2 :: v_dual_lshlrev_b32 v7, m0, v3
// GFX1250: v_dual_add_nc_u32 v255, m0, v2 :: v_dual_lshlrev_b32 v7, m0, v3 ; encoding: [0x7d,0x10,0x41,0xcf,0x7d,0x00,0x02,0x00,0xff,0x03,0x00,0x07]
// W64-ERR: :[[@LINE-2]]:1: error: instruction requires wavesize=32

v_dual_add_nc_u32 v255, vcc_hi, v2 :: v_dual_lshlrev_b32 v7, exec_lo, v3
// GFX1250: v_dual_add_nc_u32 v255, vcc_hi, v2 :: v_dual_lshlrev_b32 v7, exec_lo, v3 ; encoding: [0x6b,0x10,0x41,0xcf,0x7e,0x00,0x02,0x00,0xff,0x03,0x00,0x07]
// W64-ERR: :[[@LINE-2]]:1: error: instruction requires wavesize=32

v_dual_add_nc_u32 v255, vcc_lo, v2 :: v_dual_lshlrev_b32 v7, exec_hi, v3
// GFX1250: v_dual_add_nc_u32 v255, vcc_lo, v2 :: v_dual_lshlrev_b32 v7, exec_hi, v3 ; encoding: [0x6a,0x10,0x41,0xcf,0x7f,0x00,0x02,0x00,0xff,0x03,0x00,0x07]
// W64-ERR: :[[@LINE-2]]:1: error: instruction requires wavesize=32

v_dual_add_nc_u32 v255, src_scc, v2 :: v_dual_lshlrev_b32 v7, -1, v3
// GFX1250: v_dual_add_nc_u32 v255, src_scc, v2 :: v_dual_lshlrev_b32 v7, -1, v3 ; encoding: [0xfd,0x10,0x41,0xcf,0xc1,0x00,0x02,0x00,0xff,0x03,0x00,0x07]
// W64-ERR: :[[@LINE-2]]:1: error: instruction requires wavesize=32

v_dual_add_nc_u32 v255, 0.5, v3 :: v_dual_lshlrev_b32 v7, 0.5, v2
// GFX1250: v_dual_add_nc_u32 v255, 0.5, v3 :: v_dual_lshlrev_b32 v7, 0.5, v2 ; encoding: [0xf0,0x10,0x41,0xcf,0xf0,0x00,0x03,0x00,0xff,0x02,0x00,0x07]
// W64-ERR: :[[@LINE-2]]:1: error: instruction requires wavesize=32

v_dual_add_nc_u32 v255, -1, v4 :: v_dual_lshlrev_b32 v7, src_scc, v5
// GFX1250: v_dual_add_nc_u32 v255, -1, v4 :: v_dual_lshlrev_b32 v7, src_scc, v5 ; encoding: [0xc1,0x10,0x41,0xcf,0xfd,0x00,0x04,0x00,0xff,0x05,0x00,0x07]
// W64-ERR: :[[@LINE-2]]:1: error: instruction requires wavesize=32

v_dual_add_nc_u32 v255, v4, v2 :: v_dual_max_num_f32 v7, v1, v3
// GFX1250: v_dual_add_nc_u32 v255, v4, v2 :: v_dual_max_num_f32 v7, v1, v3 ; encoding: [0x04,0xa1,0x40,0xcf,0x01,0x01,0x02,0x00,0xff,0x03,0x00,0x07]
// W64-ERR: :[[@LINE-2]]:1: error: instruction requires wavesize=32

v_dual_add_nc_u32 v255, v1, v2 :: v_dual_max_num_f32 v7, v255, v3
// GFX1250: v_dual_add_nc_u32 v255, v1, v2 :: v_dual_max_num_f32 v7, v255, v3 ; encoding: [0x01,0xa1,0x40,0xcf,0xff,0x01,0x02,0x00,0xff,0x03,0x00,0x07]
	;; [unrolled: 4-line block ×7, first 2 shown]
// W64-ERR: :[[@LINE-2]]:1: error: instruction requires wavesize=32

v_dual_add_nc_u32 v255, ttmp15, v2 :: v_dual_max_num_f32 v7, vcc_lo, v3
// GFX1250: v_dual_add_nc_u32 v255, ttmp15, v2 :: v_dual_max_num_f32 v7, vcc_lo, v3 ; encoding: [0x7b,0xa0,0x40,0xcf,0x6a,0x00,0x02,0x00,0xff,0x03,0x00,0x07]
// W64-ERR: :[[@LINE-2]]:1: error: instruction requires wavesize=32

v_dual_add_nc_u32 v255, exec_hi, v2 :: v_dual_max_num_f32 v7, vcc_hi, v3
// GFX1250: v_dual_add_nc_u32 v255, exec_hi, v2 :: v_dual_max_num_f32 v7, vcc_hi, v3 ; encoding: [0x7f,0xa0,0x40,0xcf,0x6b,0x00,0x02,0x00,0xff,0x03,0x00,0x07]
// W64-ERR: :[[@LINE-2]]:1: error: instruction requires wavesize=32

v_dual_add_nc_u32 v255, exec_lo, v2 :: v_dual_max_num_f32 v7, ttmp15, v3
// GFX1250: v_dual_add_nc_u32 v255, exec_lo, v2 :: v_dual_max_num_f32 v7, ttmp15, v3 ; encoding: [0x7e,0xa0,0x40,0xcf,0x7b,0x00,0x02,0x00,0xff,0x03,0x00,0x07]
// W64-ERR: :[[@LINE-2]]:1: error: instruction requires wavesize=32

v_dual_add_nc_u32 v255, m0, v2 :: v_dual_max_num_f32 v7, m0, v3
// GFX1250: v_dual_add_nc_u32 v255, m0, v2 :: v_dual_max_num_f32 v7, m0, v3 ; encoding: [0x7d,0xa0,0x40,0xcf,0x7d,0x00,0x02,0x00,0xff,0x03,0x00,0x07]
// W64-ERR: :[[@LINE-2]]:1: error: instruction requires wavesize=32

v_dual_add_nc_u32 v255, vcc_hi, v2 :: v_dual_max_num_f32 v7, exec_lo, v3
// GFX1250: v_dual_add_nc_u32 v255, vcc_hi, v2 :: v_dual_max_num_f32 v7, exec_lo, v3 ; encoding: [0x6b,0xa0,0x40,0xcf,0x7e,0x00,0x02,0x00,0xff,0x03,0x00,0x07]
// W64-ERR: :[[@LINE-2]]:1: error: instruction requires wavesize=32

v_dual_add_nc_u32 v255, vcc_lo, v2 :: v_dual_max_num_f32 v7, exec_hi, v3
// GFX1250: v_dual_add_nc_u32 v255, vcc_lo, v2 :: v_dual_max_num_f32 v7, exec_hi, v3 ; encoding: [0x6a,0xa0,0x40,0xcf,0x7f,0x00,0x02,0x00,0xff,0x03,0x00,0x07]
// W64-ERR: :[[@LINE-2]]:1: error: instruction requires wavesize=32

v_dual_add_nc_u32 v255, src_scc, v2 :: v_dual_max_num_f32 v7, -1, v3
// GFX1250: v_dual_add_nc_u32 v255, src_scc, v2 :: v_dual_max_num_f32 v7, -1, v3 ; encoding: [0xfd,0xa0,0x40,0xcf,0xc1,0x00,0x02,0x00,0xff,0x03,0x00,0x07]
// W64-ERR: :[[@LINE-2]]:1: error: instruction requires wavesize=32

v_dual_add_nc_u32 v255, 0.5, v3 :: v_dual_max_num_f32 v7, 0.5, v2
// GFX1250: v_dual_add_nc_u32 v255, 0.5, v3 :: v_dual_max_num_f32 v7, 0.5, v2 ; encoding: [0xf0,0xa0,0x40,0xcf,0xf0,0x00,0x03,0x00,0xff,0x02,0x00,0x07]
// W64-ERR: :[[@LINE-2]]:1: error: instruction requires wavesize=32

v_dual_add_nc_u32 v255, -1, v4 :: v_dual_max_num_f32 v7, src_scc, v5
// GFX1250: v_dual_add_nc_u32 v255, -1, v4 :: v_dual_max_num_f32 v7, src_scc, v5 ; encoding: [0xc1,0xa0,0x40,0xcf,0xfd,0x00,0x04,0x00,0xff,0x05,0x00,0x07]
// W64-ERR: :[[@LINE-2]]:1: error: instruction requires wavesize=32

v_dual_add_nc_u32 v255, v4, v2 :: v_dual_min_num_f32 v7, v1, v3
// GFX1250: v_dual_add_nc_u32 v255, v4, v2 :: v_dual_min_num_f32 v7, v1, v3 ; encoding: [0x04,0xb1,0x40,0xcf,0x01,0x01,0x02,0x00,0xff,0x03,0x00,0x07]
// W64-ERR: :[[@LINE-2]]:1: error: instruction requires wavesize=32

v_dual_add_nc_u32 v255, v1, v2 :: v_dual_min_num_f32 v7, v255, v3
// GFX1250: v_dual_add_nc_u32 v255, v1, v2 :: v_dual_min_num_f32 v7, v255, v3 ; encoding: [0x01,0xb1,0x40,0xcf,0xff,0x01,0x02,0x00,0xff,0x03,0x00,0x07]
	;; [unrolled: 4-line block ×7, first 2 shown]
// W64-ERR: :[[@LINE-2]]:1: error: instruction requires wavesize=32

v_dual_add_nc_u32 v255, ttmp15, v2 :: v_dual_min_num_f32 v7, vcc_lo, v3
// GFX1250: v_dual_add_nc_u32 v255, ttmp15, v2 :: v_dual_min_num_f32 v7, vcc_lo, v3 ; encoding: [0x7b,0xb0,0x40,0xcf,0x6a,0x00,0x02,0x00,0xff,0x03,0x00,0x07]
// W64-ERR: :[[@LINE-2]]:1: error: instruction requires wavesize=32

v_dual_add_nc_u32 v255, exec_hi, v2 :: v_dual_min_num_f32 v7, vcc_hi, v3
// GFX1250: v_dual_add_nc_u32 v255, exec_hi, v2 :: v_dual_min_num_f32 v7, vcc_hi, v3 ; encoding: [0x7f,0xb0,0x40,0xcf,0x6b,0x00,0x02,0x00,0xff,0x03,0x00,0x07]
// W64-ERR: :[[@LINE-2]]:1: error: instruction requires wavesize=32

v_dual_add_nc_u32 v255, exec_lo, v2 :: v_dual_min_num_f32 v7, ttmp15, v3
// GFX1250: v_dual_add_nc_u32 v255, exec_lo, v2 :: v_dual_min_num_f32 v7, ttmp15, v3 ; encoding: [0x7e,0xb0,0x40,0xcf,0x7b,0x00,0x02,0x00,0xff,0x03,0x00,0x07]
// W64-ERR: :[[@LINE-2]]:1: error: instruction requires wavesize=32

v_dual_add_nc_u32 v255, m0, v2 :: v_dual_min_num_f32 v7, m0, v3
// GFX1250: v_dual_add_nc_u32 v255, m0, v2 :: v_dual_min_num_f32 v7, m0, v3 ; encoding: [0x7d,0xb0,0x40,0xcf,0x7d,0x00,0x02,0x00,0xff,0x03,0x00,0x07]
// W64-ERR: :[[@LINE-2]]:1: error: instruction requires wavesize=32

v_dual_add_nc_u32 v255, vcc_hi, v2 :: v_dual_min_num_f32 v7, exec_lo, v3
// GFX1250: v_dual_add_nc_u32 v255, vcc_hi, v2 :: v_dual_min_num_f32 v7, exec_lo, v3 ; encoding: [0x6b,0xb0,0x40,0xcf,0x7e,0x00,0x02,0x00,0xff,0x03,0x00,0x07]
// W64-ERR: :[[@LINE-2]]:1: error: instruction requires wavesize=32

v_dual_add_nc_u32 v255, vcc_lo, v2 :: v_dual_min_num_f32 v7, exec_hi, v3
// GFX1250: v_dual_add_nc_u32 v255, vcc_lo, v2 :: v_dual_min_num_f32 v7, exec_hi, v3 ; encoding: [0x6a,0xb0,0x40,0xcf,0x7f,0x00,0x02,0x00,0xff,0x03,0x00,0x07]
// W64-ERR: :[[@LINE-2]]:1: error: instruction requires wavesize=32

v_dual_add_nc_u32 v255, src_scc, v2 :: v_dual_min_num_f32 v7, -1, v3
// GFX1250: v_dual_add_nc_u32 v255, src_scc, v2 :: v_dual_min_num_f32 v7, -1, v3 ; encoding: [0xfd,0xb0,0x40,0xcf,0xc1,0x00,0x02,0x00,0xff,0x03,0x00,0x07]
// W64-ERR: :[[@LINE-2]]:1: error: instruction requires wavesize=32

v_dual_add_nc_u32 v255, 0.5, v3 :: v_dual_min_num_f32 v7, 0.5, v2
// GFX1250: v_dual_add_nc_u32 v255, 0.5, v3 :: v_dual_min_num_f32 v7, 0.5, v2 ; encoding: [0xf0,0xb0,0x40,0xcf,0xf0,0x00,0x03,0x00,0xff,0x02,0x00,0x07]
// W64-ERR: :[[@LINE-2]]:1: error: instruction requires wavesize=32

v_dual_add_nc_u32 v255, -1, v4 :: v_dual_min_num_f32 v7, src_scc, v5
// GFX1250: v_dual_add_nc_u32 v255, -1, v4 :: v_dual_min_num_f32 v7, src_scc, v5 ; encoding: [0xc1,0xb0,0x40,0xcf,0xfd,0x00,0x04,0x00,0xff,0x05,0x00,0x07]
// W64-ERR: :[[@LINE-2]]:1: error: instruction requires wavesize=32

v_dual_add_nc_u32 v255, v4, v255 :: v_dual_mov_b32 v7, v1
// GFX1250: v_dual_add_nc_u32 v255, v4, v255 :: v_dual_mov_b32 v7, v1 ; encoding: [0x04,0x81,0x40,0xcf,0x01,0x01,0xff,0x00,0xff,0x00,0x00,0x07]
// W64-ERR: :[[@LINE-2]]:1: error: instruction requires wavesize=32

v_dual_add_nc_u32 v255, v1, v255 :: v_dual_mov_b32 v7, v255
// GFX1250: v_dual_add_nc_u32 v255, v1, v255 :: v_dual_mov_b32 v7, v255 ; encoding: [0x01,0x81,0x40,0xcf,0xff,0x01,0xff,0x00,0xff,0x00,0x00,0x07]
	;; [unrolled: 4-line block ×7, first 2 shown]
// W64-ERR: :[[@LINE-2]]:1: error: instruction requires wavesize=32

v_dual_add_nc_u32 v255, ttmp15, v255 :: v_dual_mov_b32 v7, vcc_lo
// GFX1250: v_dual_add_nc_u32 v255, ttmp15, v255 :: v_dual_mov_b32 v7, vcc_lo ; encoding: [0x7b,0x80,0x40,0xcf,0x6a,0x00,0xff,0x00,0xff,0x00,0x00,0x07]
// W64-ERR: :[[@LINE-2]]:1: error: instruction requires wavesize=32

v_dual_add_nc_u32 v255, exec_hi, v255 :: v_dual_mov_b32 v7, vcc_hi
// GFX1250: v_dual_add_nc_u32 v255, exec_hi, v255 :: v_dual_mov_b32 v7, vcc_hi ; encoding: [0x7f,0x80,0x40,0xcf,0x6b,0x00,0xff,0x00,0xff,0x00,0x00,0x07]
// W64-ERR: :[[@LINE-2]]:1: error: instruction requires wavesize=32

v_dual_add_nc_u32 v255, exec_lo, v255 :: v_dual_mov_b32 v7, ttmp15
// GFX1250: v_dual_add_nc_u32 v255, exec_lo, v255 :: v_dual_mov_b32 v7, ttmp15 ; encoding: [0x7e,0x80,0x40,0xcf,0x7b,0x00,0xff,0x00,0xff,0x00,0x00,0x07]
// W64-ERR: :[[@LINE-2]]:1: error: instruction requires wavesize=32

v_dual_add_nc_u32 v255, m0, v255 :: v_dual_mov_b32 v7, m0
// GFX1250: v_dual_add_nc_u32 v255, m0, v255 :: v_dual_mov_b32 v7, m0 ; encoding: [0x7d,0x80,0x40,0xcf,0x7d,0x00,0xff,0x00,0xff,0x00,0x00,0x07]
// W64-ERR: :[[@LINE-2]]:1: error: instruction requires wavesize=32

v_dual_add_nc_u32 v255, vcc_hi, v255 :: v_dual_mov_b32 v7, exec_lo
// GFX1250: v_dual_add_nc_u32 v255, vcc_hi, v255 :: v_dual_mov_b32 v7, exec_lo ; encoding: [0x6b,0x80,0x40,0xcf,0x7e,0x00,0xff,0x00,0xff,0x00,0x00,0x07]
// W64-ERR: :[[@LINE-2]]:1: error: instruction requires wavesize=32

v_dual_add_nc_u32 v255, vcc_lo, v255 :: v_dual_mov_b32 v7, exec_hi
// GFX1250: v_dual_add_nc_u32 v255, vcc_lo, v255 :: v_dual_mov_b32 v7, exec_hi ; encoding: [0x6a,0x80,0x40,0xcf,0x7f,0x00,0xff,0x00,0xff,0x00,0x00,0x07]
// W64-ERR: :[[@LINE-2]]:1: error: instruction requires wavesize=32

v_dual_add_nc_u32 v255, src_scc, v255 :: v_dual_mov_b32 v7, -1
// GFX1250: v_dual_add_nc_u32 v255, src_scc, v255 :: v_dual_mov_b32 v7, -1 ; encoding: [0xfd,0x80,0x40,0xcf,0xc1,0x00,0xff,0x00,0xff,0x00,0x00,0x07]
// W64-ERR: :[[@LINE-2]]:1: error: instruction requires wavesize=32

v_dual_add_nc_u32 v255, 0.5, v3 :: v_dual_mov_b32 v7, 0.5
// GFX1250: v_dual_add_nc_u32 v255, 0.5, v3 :: v_dual_mov_b32 v7, 0.5 ; encoding: [0xf0,0x80,0x40,0xcf,0xf0,0x00,0x03,0x00,0xff,0x00,0x00,0x07]
// W64-ERR: :[[@LINE-2]]:1: error: instruction requires wavesize=32

v_dual_add_nc_u32 v255, -1, v4 :: v_dual_mov_b32 v7, src_scc
// GFX1250: v_dual_add_nc_u32 v255, -1, v4 :: v_dual_mov_b32 v7, src_scc ; encoding: [0xc1,0x80,0x40,0xcf,0xfd,0x00,0x04,0x00,0xff,0x00,0x00,0x07]
// W64-ERR: :[[@LINE-2]]:1: error: instruction requires wavesize=32

v_dual_add_nc_u32 v255, v4, v2 :: v_dual_mul_dx9_zero_f32 v7, v1, v3
// GFX1250: v_dual_add_nc_u32 v255, v4, v2 :: v_dual_mul_dx9_zero_f32 v7, v1, v3 ; encoding: [0x04,0x71,0x40,0xcf,0x01,0x01,0x02,0x00,0xff,0x03,0x00,0x07]
// W64-ERR: :[[@LINE-2]]:1: error: instruction requires wavesize=32

v_dual_add_nc_u32 v255, v1, v2 :: v_dual_mul_dx9_zero_f32 v7, v255, v3
// GFX1250: v_dual_add_nc_u32 v255, v1, v2 :: v_dual_mul_dx9_zero_f32 v7, v255, v3 ; encoding: [0x01,0x71,0x40,0xcf,0xff,0x01,0x02,0x00,0xff,0x03,0x00,0x07]
	;; [unrolled: 4-line block ×7, first 2 shown]
// W64-ERR: :[[@LINE-2]]:1: error: instruction requires wavesize=32

v_dual_add_nc_u32 v255, ttmp15, v2 :: v_dual_mul_dx9_zero_f32 v7, vcc_lo, v3
// GFX1250: v_dual_add_nc_u32 v255, ttmp15, v2 :: v_dual_mul_dx9_zero_f32 v7, vcc_lo, v3 ; encoding: [0x7b,0x70,0x40,0xcf,0x6a,0x00,0x02,0x00,0xff,0x03,0x00,0x07]
// W64-ERR: :[[@LINE-2]]:1: error: instruction requires wavesize=32

v_dual_add_nc_u32 v255, exec_hi, v2 :: v_dual_mul_dx9_zero_f32 v7, vcc_hi, v3
// GFX1250: v_dual_add_nc_u32 v255, exec_hi, v2 :: v_dual_mul_dx9_zero_f32 v7, vcc_hi, v3 ; encoding: [0x7f,0x70,0x40,0xcf,0x6b,0x00,0x02,0x00,0xff,0x03,0x00,0x07]
// W64-ERR: :[[@LINE-2]]:1: error: instruction requires wavesize=32

v_dual_add_nc_u32 v255, exec_lo, v2 :: v_dual_mul_dx9_zero_f32 v7, ttmp15, v3
// GFX1250: v_dual_add_nc_u32 v255, exec_lo, v2 :: v_dual_mul_dx9_zero_f32 v7, ttmp15, v3 ; encoding: [0x7e,0x70,0x40,0xcf,0x7b,0x00,0x02,0x00,0xff,0x03,0x00,0x07]
// W64-ERR: :[[@LINE-2]]:1: error: instruction requires wavesize=32

v_dual_add_nc_u32 v255, m0, v2 :: v_dual_mul_dx9_zero_f32 v7, m0, v3
// GFX1250: v_dual_add_nc_u32 v255, m0, v2 :: v_dual_mul_dx9_zero_f32 v7, m0, v3 ; encoding: [0x7d,0x70,0x40,0xcf,0x7d,0x00,0x02,0x00,0xff,0x03,0x00,0x07]
// W64-ERR: :[[@LINE-2]]:1: error: instruction requires wavesize=32

v_dual_add_nc_u32 v255, vcc_hi, v2 :: v_dual_mul_dx9_zero_f32 v7, exec_lo, v3
// GFX1250: v_dual_add_nc_u32 v255, vcc_hi, v2 :: v_dual_mul_dx9_zero_f32 v7, exec_lo, v3 ; encoding: [0x6b,0x70,0x40,0xcf,0x7e,0x00,0x02,0x00,0xff,0x03,0x00,0x07]
// W64-ERR: :[[@LINE-2]]:1: error: instruction requires wavesize=32

v_dual_add_nc_u32 v255, vcc_lo, v2 :: v_dual_mul_dx9_zero_f32 v7, exec_hi, v3
// GFX1250: v_dual_add_nc_u32 v255, vcc_lo, v2 :: v_dual_mul_dx9_zero_f32 v7, exec_hi, v3 ; encoding: [0x6a,0x70,0x40,0xcf,0x7f,0x00,0x02,0x00,0xff,0x03,0x00,0x07]
// W64-ERR: :[[@LINE-2]]:1: error: instruction requires wavesize=32

v_dual_add_nc_u32 v255, src_scc, v2 :: v_dual_mul_dx9_zero_f32 v7, -1, v3
// GFX1250: v_dual_add_nc_u32 v255, src_scc, v2 :: v_dual_mul_dx9_zero_f32 v7, -1, v3 ; encoding: [0xfd,0x70,0x40,0xcf,0xc1,0x00,0x02,0x00,0xff,0x03,0x00,0x07]
// W64-ERR: :[[@LINE-2]]:1: error: instruction requires wavesize=32

v_dual_add_nc_u32 v255, 0.5, v3 :: v_dual_mul_dx9_zero_f32 v7, 0.5, v2
// GFX1250: v_dual_add_nc_u32 v255, 0.5, v3 :: v_dual_mul_dx9_zero_f32 v7, 0.5, v2 ; encoding: [0xf0,0x70,0x40,0xcf,0xf0,0x00,0x03,0x00,0xff,0x02,0x00,0x07]
// W64-ERR: :[[@LINE-2]]:1: error: instruction requires wavesize=32

v_dual_add_nc_u32 v255, -1, v4 :: v_dual_mul_dx9_zero_f32 v7, src_scc, v5
// GFX1250: v_dual_add_nc_u32 v255, -1, v4 :: v_dual_mul_dx9_zero_f32 v7, src_scc, v5 ; encoding: [0xc1,0x70,0x40,0xcf,0xfd,0x00,0x04,0x00,0xff,0x05,0x00,0x07]
// W64-ERR: :[[@LINE-2]]:1: error: instruction requires wavesize=32

v_dual_add_nc_u32 v255, v4, v2 :: v_dual_mul_f32 v7, v1, v3
// GFX1250: v_dual_add_nc_u32 v255, v4, v2 :: v_dual_mul_f32 v7, v1, v3 ; encoding: [0x04,0x31,0x40,0xcf,0x01,0x01,0x02,0x00,0xff,0x03,0x00,0x07]
// W64-ERR: :[[@LINE-2]]:1: error: instruction requires wavesize=32

v_dual_add_nc_u32 v255, v1, v2 :: v_dual_mul_f32 v7, v255, v3
// GFX1250: v_dual_add_nc_u32 v255, v1, v2 :: v_dual_mul_f32 v7, v255, v3 ; encoding: [0x01,0x31,0x40,0xcf,0xff,0x01,0x02,0x00,0xff,0x03,0x00,0x07]
	;; [unrolled: 4-line block ×7, first 2 shown]
// W64-ERR: :[[@LINE-2]]:1: error: instruction requires wavesize=32

v_dual_add_nc_u32 v255, ttmp15, v2 :: v_dual_mul_f32 v7, vcc_lo, v3
// GFX1250: v_dual_add_nc_u32 v255, ttmp15, v2 :: v_dual_mul_f32 v7, vcc_lo, v3 ; encoding: [0x7b,0x30,0x40,0xcf,0x6a,0x00,0x02,0x00,0xff,0x03,0x00,0x07]
// W64-ERR: :[[@LINE-2]]:1: error: instruction requires wavesize=32

v_dual_add_nc_u32 v255, exec_hi, v2 :: v_dual_mul_f32 v7, vcc_hi, v3
// GFX1250: v_dual_add_nc_u32 v255, exec_hi, v2 :: v_dual_mul_f32 v7, vcc_hi, v3 ; encoding: [0x7f,0x30,0x40,0xcf,0x6b,0x00,0x02,0x00,0xff,0x03,0x00,0x07]
// W64-ERR: :[[@LINE-2]]:1: error: instruction requires wavesize=32

v_dual_add_nc_u32 v255, exec_lo, v2 :: v_dual_mul_f32 v7, ttmp15, v3
// GFX1250: v_dual_add_nc_u32 v255, exec_lo, v2 :: v_dual_mul_f32 v7, ttmp15, v3 ; encoding: [0x7e,0x30,0x40,0xcf,0x7b,0x00,0x02,0x00,0xff,0x03,0x00,0x07]
// W64-ERR: :[[@LINE-2]]:1: error: instruction requires wavesize=32

v_dual_add_nc_u32 v255, m0, v2 :: v_dual_mul_f32 v7, m0, v3
// GFX1250: v_dual_add_nc_u32 v255, m0, v2 :: v_dual_mul_f32 v7, m0, v3 ; encoding: [0x7d,0x30,0x40,0xcf,0x7d,0x00,0x02,0x00,0xff,0x03,0x00,0x07]
// W64-ERR: :[[@LINE-2]]:1: error: instruction requires wavesize=32

v_dual_add_nc_u32 v255, vcc_hi, v2 :: v_dual_mul_f32 v7, exec_lo, v3
// GFX1250: v_dual_add_nc_u32 v255, vcc_hi, v2 :: v_dual_mul_f32 v7, exec_lo, v3 ; encoding: [0x6b,0x30,0x40,0xcf,0x7e,0x00,0x02,0x00,0xff,0x03,0x00,0x07]
// W64-ERR: :[[@LINE-2]]:1: error: instruction requires wavesize=32

v_dual_add_nc_u32 v255, vcc_lo, v2 :: v_dual_mul_f32 v7, exec_hi, v3
// GFX1250: v_dual_add_nc_u32 v255, vcc_lo, v2 :: v_dual_mul_f32 v7, exec_hi, v3 ; encoding: [0x6a,0x30,0x40,0xcf,0x7f,0x00,0x02,0x00,0xff,0x03,0x00,0x07]
// W64-ERR: :[[@LINE-2]]:1: error: instruction requires wavesize=32

v_dual_add_nc_u32 v255, src_scc, v2 :: v_dual_mul_f32 v7, -1, v3
// GFX1250: v_dual_add_nc_u32 v255, src_scc, v2 :: v_dual_mul_f32 v7, -1, v3 ; encoding: [0xfd,0x30,0x40,0xcf,0xc1,0x00,0x02,0x00,0xff,0x03,0x00,0x07]
// W64-ERR: :[[@LINE-2]]:1: error: instruction requires wavesize=32

v_dual_add_nc_u32 v255, 0.5, v3 :: v_dual_mul_f32 v7, 0.5, v2
// GFX1250: v_dual_add_nc_u32 v255, 0.5, v3 :: v_dual_mul_f32 v7, 0.5, v2 ; encoding: [0xf0,0x30,0x40,0xcf,0xf0,0x00,0x03,0x00,0xff,0x02,0x00,0x07]
// W64-ERR: :[[@LINE-2]]:1: error: instruction requires wavesize=32

v_dual_add_nc_u32 v255, -1, v4 :: v_dual_mul_f32 v7, src_scc, v5
// GFX1250: v_dual_add_nc_u32 v255, -1, v4 :: v_dual_mul_f32 v7, src_scc, v5 ; encoding: [0xc1,0x30,0x40,0xcf,0xfd,0x00,0x04,0x00,0xff,0x05,0x00,0x07]
// W64-ERR: :[[@LINE-2]]:1: error: instruction requires wavesize=32

v_dual_add_nc_u32 v255, v4, v2 :: v_dual_sub_f32 v7, v1, v3
// GFX1250: v_dual_add_nc_u32 v255, v4, v2 :: v_dual_sub_f32 v7, v1, v3 ; encoding: [0x04,0x51,0x40,0xcf,0x01,0x01,0x02,0x00,0xff,0x03,0x00,0x07]
// W64-ERR: :[[@LINE-2]]:1: error: instruction requires wavesize=32

v_dual_add_nc_u32 v255, v1, v2 :: v_dual_sub_f32 v7, v255, v3
// GFX1250: v_dual_add_nc_u32 v255, v1, v2 :: v_dual_sub_f32 v7, v255, v3 ; encoding: [0x01,0x51,0x40,0xcf,0xff,0x01,0x02,0x00,0xff,0x03,0x00,0x07]
// W64-ERR: :[[@LINE-2]]:1: error: instruction requires wavesize=32

v_dual_add_nc_u32 v255, v255, v2 :: v_dual_sub_f32 v7, v2, v3
// GFX1250: v_dual_add_nc_u32 v255, v255, v2 :: v_dual_sub_f32 v7, v2, v3 ; encoding: [0xff,0x51,0x40,0xcf,0x02,0x01,0x02,0x00,0xff,0x03,0x00,0x07]
// W64-ERR: :[[@LINE-2]]:1: error: instruction requires wavesize=32

v_dual_add_nc_u32 v255, v2, v2 :: v_dual_sub_f32 v7, v3, v3
// GFX1250: v_dual_add_nc_u32 v255, v2, v2 :: v_dual_sub_f32 v7, v3, v3 ; encoding: [0x02,0x51,0x40,0xcf,0x03,0x01,0x02,0x00,0xff,0x03,0x00,0x07]
// W64-ERR: :[[@LINE-2]]:1: error: instruction requires wavesize=32

v_dual_add_nc_u32 v255, v3, v2 :: v_dual_sub_f32 v7, v4, v3
// GFX1250: v_dual_add_nc_u32 v255, v3, v2 :: v_dual_sub_f32 v7, v4, v3 ; encoding: [0x03,0x51,0x40,0xcf,0x04,0x01,0x02,0x00,0xff,0x03,0x00,0x07]
// W64-ERR: :[[@LINE-2]]:1: error: instruction requires wavesize=32

v_dual_add_nc_u32 v255, s105, v2 :: v_dual_sub_f32 v7, s1, v3
// GFX1250: v_dual_add_nc_u32 v255, s105, v2 :: v_dual_sub_f32 v7, s1, v3 ; encoding: [0x69,0x50,0x40,0xcf,0x01,0x00,0x02,0x00,0xff,0x03,0x00,0x07]
// W64-ERR: :[[@LINE-2]]:1: error: instruction requires wavesize=32

v_dual_add_nc_u32 v255, s1, v2 :: v_dual_sub_f32 v7, s105, v3
// GFX1250: v_dual_add_nc_u32 v255, s1, v2 :: v_dual_sub_f32 v7, s105, v3 ; encoding: [0x01,0x50,0x40,0xcf,0x69,0x00,0x02,0x00,0xff,0x03,0x00,0x07]
// W64-ERR: :[[@LINE-2]]:1: error: instruction requires wavesize=32

v_dual_add_nc_u32 v255, ttmp15, v2 :: v_dual_sub_f32 v7, vcc_lo, v3
// GFX1250: v_dual_add_nc_u32 v255, ttmp15, v2 :: v_dual_sub_f32 v7, vcc_lo, v3 ; encoding: [0x7b,0x50,0x40,0xcf,0x6a,0x00,0x02,0x00,0xff,0x03,0x00,0x07]
// W64-ERR: :[[@LINE-2]]:1: error: instruction requires wavesize=32

v_dual_add_nc_u32 v255, exec_hi, v2 :: v_dual_sub_f32 v7, vcc_hi, v3
// GFX1250: v_dual_add_nc_u32 v255, exec_hi, v2 :: v_dual_sub_f32 v7, vcc_hi, v3 ; encoding: [0x7f,0x50,0x40,0xcf,0x6b,0x00,0x02,0x00,0xff,0x03,0x00,0x07]
// W64-ERR: :[[@LINE-2]]:1: error: instruction requires wavesize=32

v_dual_add_nc_u32 v255, exec_lo, v2 :: v_dual_sub_f32 v7, ttmp15, v3
// GFX1250: v_dual_add_nc_u32 v255, exec_lo, v2 :: v_dual_sub_f32 v7, ttmp15, v3 ; encoding: [0x7e,0x50,0x40,0xcf,0x7b,0x00,0x02,0x00,0xff,0x03,0x00,0x07]
// W64-ERR: :[[@LINE-2]]:1: error: instruction requires wavesize=32

v_dual_add_nc_u32 v255, m0, v2 :: v_dual_sub_f32 v7, m0, v3
// GFX1250: v_dual_add_nc_u32 v255, m0, v2 :: v_dual_sub_f32 v7, m0, v3 ; encoding: [0x7d,0x50,0x40,0xcf,0x7d,0x00,0x02,0x00,0xff,0x03,0x00,0x07]
// W64-ERR: :[[@LINE-2]]:1: error: instruction requires wavesize=32

v_dual_add_nc_u32 v255, vcc_hi, v2 :: v_dual_sub_f32 v7, exec_lo, v3
// GFX1250: v_dual_add_nc_u32 v255, vcc_hi, v2 :: v_dual_sub_f32 v7, exec_lo, v3 ; encoding: [0x6b,0x50,0x40,0xcf,0x7e,0x00,0x02,0x00,0xff,0x03,0x00,0x07]
// W64-ERR: :[[@LINE-2]]:1: error: instruction requires wavesize=32

v_dual_add_nc_u32 v255, vcc_lo, v2 :: v_dual_sub_f32 v7, exec_hi, v3
// GFX1250: v_dual_add_nc_u32 v255, vcc_lo, v2 :: v_dual_sub_f32 v7, exec_hi, v3 ; encoding: [0x6a,0x50,0x40,0xcf,0x7f,0x00,0x02,0x00,0xff,0x03,0x00,0x07]
// W64-ERR: :[[@LINE-2]]:1: error: instruction requires wavesize=32

v_dual_add_nc_u32 v255, src_scc, v2 :: v_dual_sub_f32 v7, -1, v3
// GFX1250: v_dual_add_nc_u32 v255, src_scc, v2 :: v_dual_sub_f32 v7, -1, v3 ; encoding: [0xfd,0x50,0x40,0xcf,0xc1,0x00,0x02,0x00,0xff,0x03,0x00,0x07]
// W64-ERR: :[[@LINE-2]]:1: error: instruction requires wavesize=32

v_dual_add_nc_u32 v255, 0.5, v3 :: v_dual_sub_f32 v7, 0.5, v2
// GFX1250: v_dual_add_nc_u32 v255, 0.5, v3 :: v_dual_sub_f32 v7, 0.5, v2 ; encoding: [0xf0,0x50,0x40,0xcf,0xf0,0x00,0x03,0x00,0xff,0x02,0x00,0x07]
// W64-ERR: :[[@LINE-2]]:1: error: instruction requires wavesize=32

v_dual_add_nc_u32 v255, -1, v4 :: v_dual_sub_f32 v7, src_scc, v5
// GFX1250: v_dual_add_nc_u32 v255, -1, v4 :: v_dual_sub_f32 v7, src_scc, v5 ; encoding: [0xc1,0x50,0x40,0xcf,0xfd,0x00,0x04,0x00,0xff,0x05,0x00,0x07]
// W64-ERR: :[[@LINE-2]]:1: error: instruction requires wavesize=32

v_dual_add_nc_u32 v255, v4, v2 :: v_dual_subrev_f32 v7, v1, v3
// GFX1250: v_dual_add_nc_u32 v255, v4, v2 :: v_dual_subrev_f32 v7, v1, v3 ; encoding: [0x04,0x61,0x40,0xcf,0x01,0x01,0x02,0x00,0xff,0x03,0x00,0x07]
// W64-ERR: :[[@LINE-2]]:1: error: instruction requires wavesize=32

v_dual_add_nc_u32 v255, v1, v2 :: v_dual_subrev_f32 v7, v255, v3
// GFX1250: v_dual_add_nc_u32 v255, v1, v2 :: v_dual_subrev_f32 v7, v255, v3 ; encoding: [0x01,0x61,0x40,0xcf,0xff,0x01,0x02,0x00,0xff,0x03,0x00,0x07]
	;; [unrolled: 4-line block ×7, first 2 shown]
// W64-ERR: :[[@LINE-2]]:1: error: instruction requires wavesize=32

v_dual_add_nc_u32 v255, ttmp15, v2 :: v_dual_subrev_f32 v7, vcc_lo, v3
// GFX1250: v_dual_add_nc_u32 v255, ttmp15, v2 :: v_dual_subrev_f32 v7, vcc_lo, v3 ; encoding: [0x7b,0x60,0x40,0xcf,0x6a,0x00,0x02,0x00,0xff,0x03,0x00,0x07]
// W64-ERR: :[[@LINE-2]]:1: error: instruction requires wavesize=32

v_dual_add_nc_u32 v255, exec_hi, v2 :: v_dual_subrev_f32 v7, vcc_hi, v3
// GFX1250: v_dual_add_nc_u32 v255, exec_hi, v2 :: v_dual_subrev_f32 v7, vcc_hi, v3 ; encoding: [0x7f,0x60,0x40,0xcf,0x6b,0x00,0x02,0x00,0xff,0x03,0x00,0x07]
// W64-ERR: :[[@LINE-2]]:1: error: instruction requires wavesize=32

v_dual_add_nc_u32 v255, exec_lo, v2 :: v_dual_subrev_f32 v7, ttmp15, v3
// GFX1250: v_dual_add_nc_u32 v255, exec_lo, v2 :: v_dual_subrev_f32 v7, ttmp15, v3 ; encoding: [0x7e,0x60,0x40,0xcf,0x7b,0x00,0x02,0x00,0xff,0x03,0x00,0x07]
// W64-ERR: :[[@LINE-2]]:1: error: instruction requires wavesize=32

v_dual_add_nc_u32 v255, m0, v2 :: v_dual_subrev_f32 v7, m0, v3
// GFX1250: v_dual_add_nc_u32 v255, m0, v2 :: v_dual_subrev_f32 v7, m0, v3 ; encoding: [0x7d,0x60,0x40,0xcf,0x7d,0x00,0x02,0x00,0xff,0x03,0x00,0x07]
// W64-ERR: :[[@LINE-2]]:1: error: instruction requires wavesize=32

v_dual_add_nc_u32 v255, vcc_hi, v2 :: v_dual_subrev_f32 v7, exec_lo, v3
// GFX1250: v_dual_add_nc_u32 v255, vcc_hi, v2 :: v_dual_subrev_f32 v7, exec_lo, v3 ; encoding: [0x6b,0x60,0x40,0xcf,0x7e,0x00,0x02,0x00,0xff,0x03,0x00,0x07]
// W64-ERR: :[[@LINE-2]]:1: error: instruction requires wavesize=32

v_dual_add_nc_u32 v255, vcc_lo, v2 :: v_dual_subrev_f32 v7, exec_hi, v3
// GFX1250: v_dual_add_nc_u32 v255, vcc_lo, v2 :: v_dual_subrev_f32 v7, exec_hi, v3 ; encoding: [0x6a,0x60,0x40,0xcf,0x7f,0x00,0x02,0x00,0xff,0x03,0x00,0x07]
// W64-ERR: :[[@LINE-2]]:1: error: instruction requires wavesize=32

v_dual_add_nc_u32 v255, src_scc, v2 :: v_dual_subrev_f32 v7, -1, v3
// GFX1250: v_dual_add_nc_u32 v255, src_scc, v2 :: v_dual_subrev_f32 v7, -1, v3 ; encoding: [0xfd,0x60,0x40,0xcf,0xc1,0x00,0x02,0x00,0xff,0x03,0x00,0x07]
// W64-ERR: :[[@LINE-2]]:1: error: instruction requires wavesize=32

v_dual_add_nc_u32 v255, 0.5, v3 :: v_dual_subrev_f32 v7, 0.5, v2
// GFX1250: v_dual_add_nc_u32 v255, 0.5, v3 :: v_dual_subrev_f32 v7, 0.5, v2 ; encoding: [0xf0,0x60,0x40,0xcf,0xf0,0x00,0x03,0x00,0xff,0x02,0x00,0x07]
// W64-ERR: :[[@LINE-2]]:1: error: instruction requires wavesize=32

v_dual_add_nc_u32 v255, -1, v4 :: v_dual_subrev_f32 v7, src_scc, v5
// GFX1250: v_dual_add_nc_u32 v255, -1, v4 :: v_dual_subrev_f32 v7, src_scc, v5 ; encoding: [0xc1,0x60,0x40,0xcf,0xfd,0x00,0x04,0x00,0xff,0x05,0x00,0x07]
// W64-ERR: :[[@LINE-2]]:1: error: instruction requires wavesize=32

v_dual_add_nc_u32 v254, v4, v2 :: v_dual_fma_f32 v7, v1, v3, v4
// GFX1250: v_dual_add_nc_u32 v254, v4, v2 :: v_dual_fma_f32 v7, v1, v3, v4 ; encoding: [0x04,0x31,0x41,0xcf,0x01,0x01,0x02,0x00,0xfe,0x03,0x04,0x07]
// W64-ERR: :[[@LINE-2]]:1: error: instruction requires wavesize=32

v_dual_add_nc_u32 v254, v4, v2 :: v_dual_sub_nc_u32 v9, v1, v13
// GFX1250: v_dual_add_nc_u32 v254, v4, v2 :: v_dual_sub_nc_u32 v9, v1, v13 ; encoding: [0x04,0x41,0x41,0xcf,0x01,0x01,0x02,0x00,0xfe,0x0d,0x00,0x09]
// W64-ERR: :[[@LINE-2]]:1: error: instruction requires wavesize=32

v_dual_add_nc_u32 v254, v4, v2 :: v_dual_lshrrev_b32 v9, v1, v13
// GFX1250: v_dual_add_nc_u32 v254, v4, v2 :: v_dual_lshrrev_b32 v9, v1, v13 ; encoding: [0x04,0x51,0x41,0xcf,0x01,0x01,0x02,0x00,0xfe,0x0d,0x00,0x09]
// W64-ERR: :[[@LINE-2]]:1: error: instruction requires wavesize=32

v_dual_add_nc_u32 v254, v4, v2 :: v_dual_ashrrev_i32 v9, v1, v13
// GFX1250: v_dual_add_nc_u32 v254, v4, v2 :: v_dual_ashrrev_i32 v9, v1, v13 ; encoding: [0x04,0x61,0x41,0xcf,0x01,0x01,0x02,0x00,0xfe,0x0d,0x00,0x09]
// W64-ERR: :[[@LINE-2]]:1: error: instruction requires wavesize=32

v_dual_add_nc_u32 v254, v4, v2 :: v_dual_bitop2_b32 v7, v1, v3 bitop3:0x84
// GFX1250: v_dual_add_nc_u32 v254, v4, v2 :: v_dual_bitop2_b32 v7, v1, v3 bitop3:0x84 ; encoding: [0x04,0x21,0x41,0xcf,0x01,0x01,0x02,0x00,0xfe,0x03,0x84,0x07]
// W64-ERR: :[[@LINE-2]]:1: error: instruction requires wavesize=32

v_dual_lshlrev_b32 v254, v4, v2 :: v_dual_add_f32 v7, v1, v3
// GFX1250: v_dual_lshlrev_b32 v254, v4, v2 :: v_dual_add_f32 v7, v1, v3 ; encoding: [0x04,0x41,0x44,0xcf,0x01,0x01,0x02,0x00,0xfe,0x03,0x00,0x07]
// W64-ERR: :[[@LINE-2]]:1: error: instruction requires wavesize=32

v_dual_lshlrev_b32 v255, v1, v2 :: v_dual_add_f32 v7, v255, v3
// GFX1250: v_dual_lshlrev_b32 v255, v1, v2 :: v_dual_add_f32 v7, v255, v3 ; encoding: [0x01,0x41,0x44,0xcf,0xff,0x01,0x02,0x00,0xff,0x03,0x00,0x07]
	;; [unrolled: 4-line block ×7, first 2 shown]
// W64-ERR: :[[@LINE-2]]:1: error: instruction requires wavesize=32

v_dual_lshlrev_b32 v255, ttmp15, v2 :: v_dual_add_f32 v7, vcc_lo, v3
// GFX1250: v_dual_lshlrev_b32 v255, ttmp15, v2 :: v_dual_add_f32 v7, vcc_lo, v3 ; encoding: [0x7b,0x40,0x44,0xcf,0x6a,0x00,0x02,0x00,0xff,0x03,0x00,0x07]
// W64-ERR: :[[@LINE-2]]:1: error: instruction requires wavesize=32

v_dual_lshlrev_b32 v255, exec_hi, v2 :: v_dual_add_f32 v7, vcc_hi, v3
// GFX1250: v_dual_lshlrev_b32 v255, exec_hi, v2 :: v_dual_add_f32 v7, vcc_hi, v3 ; encoding: [0x7f,0x40,0x44,0xcf,0x6b,0x00,0x02,0x00,0xff,0x03,0x00,0x07]
// W64-ERR: :[[@LINE-2]]:1: error: instruction requires wavesize=32

v_dual_lshlrev_b32 v255, exec_lo, v2 :: v_dual_add_f32 v7, ttmp15, v3
// GFX1250: v_dual_lshlrev_b32 v255, exec_lo, v2 :: v_dual_add_f32 v7, ttmp15, v3 ; encoding: [0x7e,0x40,0x44,0xcf,0x7b,0x00,0x02,0x00,0xff,0x03,0x00,0x07]
// W64-ERR: :[[@LINE-2]]:1: error: instruction requires wavesize=32

v_dual_lshlrev_b32 v255, m0, v2 :: v_dual_add_f32 v7, m0, v3
// GFX1250: v_dual_lshlrev_b32 v255, m0, v2 :: v_dual_add_f32 v7, m0, v3 ; encoding: [0x7d,0x40,0x44,0xcf,0x7d,0x00,0x02,0x00,0xff,0x03,0x00,0x07]
// W64-ERR: :[[@LINE-2]]:1: error: instruction requires wavesize=32

v_dual_lshlrev_b32 v255, vcc_hi, v2 :: v_dual_add_f32 v7, exec_lo, v3
// GFX1250: v_dual_lshlrev_b32 v255, vcc_hi, v2 :: v_dual_add_f32 v7, exec_lo, v3 ; encoding: [0x6b,0x40,0x44,0xcf,0x7e,0x00,0x02,0x00,0xff,0x03,0x00,0x07]
// W64-ERR: :[[@LINE-2]]:1: error: instruction requires wavesize=32

v_dual_lshlrev_b32 v255, vcc_lo, v2 :: v_dual_add_f32 v7, exec_hi, v3
// GFX1250: v_dual_lshlrev_b32 v255, vcc_lo, v2 :: v_dual_add_f32 v7, exec_hi, v3 ; encoding: [0x6a,0x40,0x44,0xcf,0x7f,0x00,0x02,0x00,0xff,0x03,0x00,0x07]
// W64-ERR: :[[@LINE-2]]:1: error: instruction requires wavesize=32

v_dual_lshlrev_b32 v255, src_scc, v2 :: v_dual_add_f32 v7, -1, v3
// GFX1250: v_dual_lshlrev_b32 v255, src_scc, v2 :: v_dual_add_f32 v7, -1, v3 ; encoding: [0xfd,0x40,0x44,0xcf,0xc1,0x00,0x02,0x00,0xff,0x03,0x00,0x07]
// W64-ERR: :[[@LINE-2]]:1: error: instruction requires wavesize=32

v_dual_lshlrev_b32 v255, 0.5, v3 :: v_dual_add_f32 v7, 0.5, v2
// GFX1250: v_dual_lshlrev_b32 v255, 0.5, v3 :: v_dual_add_f32 v7, 0.5, v2 ; encoding: [0xf0,0x40,0x44,0xcf,0xf0,0x00,0x03,0x00,0xff,0x02,0x00,0x07]
// W64-ERR: :[[@LINE-2]]:1: error: instruction requires wavesize=32

v_dual_lshlrev_b32 v255, -1, v4 :: v_dual_add_f32 v7, src_scc, v5
// GFX1250: v_dual_lshlrev_b32 v255, -1, v4 :: v_dual_add_f32 v7, src_scc, v5 ; encoding: [0xc1,0x40,0x44,0xcf,0xfd,0x00,0x04,0x00,0xff,0x05,0x00,0x07]
// W64-ERR: :[[@LINE-2]]:1: error: instruction requires wavesize=32

v_dual_lshlrev_b32 v255, v4, v2 :: v_dual_add_nc_u32 v7, v1, v3
// GFX1250: v_dual_lshlrev_b32 v255, v4, v2 :: v_dual_add_nc_u32 v7, v1, v3 ; encoding: [0x04,0x01,0x45,0xcf,0x01,0x01,0x02,0x00,0xff,0x03,0x00,0x07]
// W64-ERR: :[[@LINE-2]]:1: error: instruction requires wavesize=32

v_dual_lshlrev_b32 v255, v1, v2 :: v_dual_add_nc_u32 v7, v255, v3
// GFX1250: v_dual_lshlrev_b32 v255, v1, v2 :: v_dual_add_nc_u32 v7, v255, v3 ; encoding: [0x01,0x01,0x45,0xcf,0xff,0x01,0x02,0x00,0xff,0x03,0x00,0x07]
	;; [unrolled: 4-line block ×7, first 2 shown]
// W64-ERR: :[[@LINE-2]]:1: error: instruction requires wavesize=32

v_dual_lshlrev_b32 v255, ttmp15, v2 :: v_dual_add_nc_u32 v7, vcc_lo, v3
// GFX1250: v_dual_lshlrev_b32 v255, ttmp15, v2 :: v_dual_add_nc_u32 v7, vcc_lo, v3 ; encoding: [0x7b,0x00,0x45,0xcf,0x6a,0x00,0x02,0x00,0xff,0x03,0x00,0x07]
// W64-ERR: :[[@LINE-2]]:1: error: instruction requires wavesize=32

v_dual_lshlrev_b32 v255, exec_hi, v2 :: v_dual_add_nc_u32 v7, vcc_hi, v3
// GFX1250: v_dual_lshlrev_b32 v255, exec_hi, v2 :: v_dual_add_nc_u32 v7, vcc_hi, v3 ; encoding: [0x7f,0x00,0x45,0xcf,0x6b,0x00,0x02,0x00,0xff,0x03,0x00,0x07]
// W64-ERR: :[[@LINE-2]]:1: error: instruction requires wavesize=32

v_dual_lshlrev_b32 v255, exec_lo, v2 :: v_dual_add_nc_u32 v7, ttmp15, v3
// GFX1250: v_dual_lshlrev_b32 v255, exec_lo, v2 :: v_dual_add_nc_u32 v7, ttmp15, v3 ; encoding: [0x7e,0x00,0x45,0xcf,0x7b,0x00,0x02,0x00,0xff,0x03,0x00,0x07]
// W64-ERR: :[[@LINE-2]]:1: error: instruction requires wavesize=32

v_dual_lshlrev_b32 v255, m0, v2 :: v_dual_add_nc_u32 v7, m0, v3
// GFX1250: v_dual_lshlrev_b32 v255, m0, v2 :: v_dual_add_nc_u32 v7, m0, v3 ; encoding: [0x7d,0x00,0x45,0xcf,0x7d,0x00,0x02,0x00,0xff,0x03,0x00,0x07]
// W64-ERR: :[[@LINE-2]]:1: error: instruction requires wavesize=32

v_dual_lshlrev_b32 v255, vcc_hi, v2 :: v_dual_add_nc_u32 v7, exec_lo, v3
// GFX1250: v_dual_lshlrev_b32 v255, vcc_hi, v2 :: v_dual_add_nc_u32 v7, exec_lo, v3 ; encoding: [0x6b,0x00,0x45,0xcf,0x7e,0x00,0x02,0x00,0xff,0x03,0x00,0x07]
// W64-ERR: :[[@LINE-2]]:1: error: instruction requires wavesize=32

v_dual_lshlrev_b32 v255, vcc_lo, v2 :: v_dual_add_nc_u32 v7, exec_hi, v3
// GFX1250: v_dual_lshlrev_b32 v255, vcc_lo, v2 :: v_dual_add_nc_u32 v7, exec_hi, v3 ; encoding: [0x6a,0x00,0x45,0xcf,0x7f,0x00,0x02,0x00,0xff,0x03,0x00,0x07]
// W64-ERR: :[[@LINE-2]]:1: error: instruction requires wavesize=32

v_dual_lshlrev_b32 v255, src_scc, v2 :: v_dual_add_nc_u32 v7, -1, v3
// GFX1250: v_dual_lshlrev_b32 v255, src_scc, v2 :: v_dual_add_nc_u32 v7, -1, v3 ; encoding: [0xfd,0x00,0x45,0xcf,0xc1,0x00,0x02,0x00,0xff,0x03,0x00,0x07]
// W64-ERR: :[[@LINE-2]]:1: error: instruction requires wavesize=32

v_dual_lshlrev_b32 v255, 0.5, v3 :: v_dual_add_nc_u32 v7, 0.5, v2
// GFX1250: v_dual_lshlrev_b32 v255, 0.5, v3 :: v_dual_add_nc_u32 v7, 0.5, v2 ; encoding: [0xf0,0x00,0x45,0xcf,0xf0,0x00,0x03,0x00,0xff,0x02,0x00,0x07]
// W64-ERR: :[[@LINE-2]]:1: error: instruction requires wavesize=32

v_dual_lshlrev_b32 v255, -1, v4 :: v_dual_add_nc_u32 v7, src_scc, v5
// GFX1250: v_dual_lshlrev_b32 v255, -1, v4 :: v_dual_add_nc_u32 v7, src_scc, v5 ; encoding: [0xc1,0x00,0x45,0xcf,0xfd,0x00,0x04,0x00,0xff,0x05,0x00,0x07]
// W64-ERR: :[[@LINE-2]]:1: error: instruction requires wavesize=32

v_dual_lshlrev_b32 v255, v4, v2 :: v_dual_cndmask_b32 v7, v1, v3, vcc_lo
// GFX1250: v_dual_lshlrev_b32 v255, v4, v2 :: v_dual_cndmask_b32 v7, v1, v3, vcc_lo ; encoding: [0x04,0x91,0x44,0xcf,0x01,0x01,0x02,0x00,0xff,0x03,0x6a,0x07]
// W64-ERR: :[[@LINE-2]]:1: error: instruction requires wavesize=32

v_dual_lshlrev_b32 v255, v1, v2 :: v_dual_cndmask_b32 v7, v255, v3, vcc_lo
// GFX1250: v_dual_lshlrev_b32 v255, v1, v2 :: v_dual_cndmask_b32 v7, v255, v3, vcc_lo ; encoding: [0x01,0x91,0x44,0xcf,0xff,0x01,0x02,0x00,0xff,0x03,0x6a,0x07]
	;; [unrolled: 4-line block ×7, first 2 shown]
// W64-ERR: :[[@LINE-2]]:1: error: instruction requires wavesize=32

v_dual_lshlrev_b32 v255, ttmp15, v2 :: v_dual_cndmask_b32 v7, ttmp15, v3, vcc_lo
// GFX1250: v_dual_lshlrev_b32 v255, ttmp15, v2 :: v_dual_cndmask_b32 v7, ttmp15, v3, vcc_lo ; encoding: [0x7b,0x90,0x44,0xcf,0x7b,0x00,0x02,0x00,0xff,0x03,0x6a,0x07]
// W64-ERR: :[[@LINE-2]]:1: error: instruction requires wavesize=32

v_dual_lshlrev_b32 v255, exec_hi, v2 :: v_dual_cndmask_b32 v7, exec_hi, v3, vcc_lo
// GFX1250: v_dual_lshlrev_b32 v255, exec_hi, v2 :: v_dual_cndmask_b32 v7, exec_hi, v3, vcc_lo ; encoding: [0x7f,0x90,0x44,0xcf,0x7f,0x00,0x02,0x00,0xff,0x03,0x6a,0x07]
// W64-ERR: :[[@LINE-2]]:1: error: instruction requires wavesize=32

v_dual_lshlrev_b32 v255, exec_lo, v2 :: v_dual_cndmask_b32 v7, exec_lo, v3, vcc_lo
// GFX1250: v_dual_lshlrev_b32 v255, exec_lo, v2 :: v_dual_cndmask_b32 v7, exec_lo, v3, vcc_lo ; encoding: [0x7e,0x90,0x44,0xcf,0x7e,0x00,0x02,0x00,0xff,0x03,0x6a,0x07]
// W64-ERR: :[[@LINE-2]]:1: error: instruction requires wavesize=32

v_dual_lshlrev_b32 v255, m0, v2 :: v_dual_cndmask_b32 v7, m0, v3, vcc_lo
// GFX1250: v_dual_lshlrev_b32 v255, m0, v2 :: v_dual_cndmask_b32 v7, m0, v3, vcc_lo ; encoding: [0x7d,0x90,0x44,0xcf,0x7d,0x00,0x02,0x00,0xff,0x03,0x6a,0x07]
// W64-ERR: :[[@LINE-2]]:1: error: instruction requires wavesize=32

v_dual_lshlrev_b32 v255, vcc_hi, v2 :: v_dual_cndmask_b32 v7, vcc_hi, v3, vcc_lo
// GFX1250: v_dual_lshlrev_b32 v255, vcc_hi, v2 :: v_dual_cndmask_b32 v7, vcc_hi, v3, vcc_lo ; encoding: [0x6b,0x90,0x44,0xcf,0x6b,0x00,0x02,0x00,0xff,0x03,0x6a,0x07]
// W64-ERR: :[[@LINE-2]]:1: error: instruction requires wavesize=32

v_dual_lshlrev_b32 v255, vcc_lo, v2 :: v_dual_cndmask_b32 v7, vcc_lo, v3, vcc_lo
// GFX1250: v_dual_lshlrev_b32 v255, vcc_lo, v2 :: v_dual_cndmask_b32 v7, vcc_lo, v3, vcc_lo ; encoding: [0x6a,0x90,0x44,0xcf,0x6a,0x00,0x02,0x00,0xff,0x03,0x6a,0x07]
// W64-ERR: :[[@LINE-2]]:1: error: instruction requires wavesize=32

v_dual_lshlrev_b32 v255, src_scc, v2 :: v_dual_cndmask_b32 v7, -1, v3, vcc_lo
// GFX1250: v_dual_lshlrev_b32 v255, src_scc, v2 :: v_dual_cndmask_b32 v7, -1, v3, vcc_lo ; encoding: [0xfd,0x90,0x44,0xcf,0xc1,0x00,0x02,0x00,0xff,0x03,0x6a,0x07]
// W64-ERR: :[[@LINE-2]]:1: error: instruction requires wavesize=32

v_dual_lshlrev_b32 v255, 0.5, v3 :: v_dual_cndmask_b32 v7, 0.5, v2, vcc_lo
// GFX1250: v_dual_lshlrev_b32 v255, 0.5, v3 :: v_dual_cndmask_b32 v7, 0.5, v2, vcc_lo ; encoding: [0xf0,0x90,0x44,0xcf,0xf0,0x00,0x03,0x00,0xff,0x02,0x6a,0x07]
// W64-ERR: :[[@LINE-2]]:1: error: instruction requires wavesize=32

v_dual_lshlrev_b32 v255, -1, v4 :: v_dual_cndmask_b32 v7, src_scc, v5, vcc_lo
// GFX1250: v_dual_lshlrev_b32 v255, -1, v4 :: v_dual_cndmask_b32 v7, src_scc, v5, vcc_lo ; encoding: [0xc1,0x90,0x44,0xcf,0xfd,0x00,0x04,0x00,0xff,0x05,0x6a,0x07]
// W64-ERR: :[[@LINE-2]]:1: error: instruction requires wavesize=32

v_dual_lshlrev_b32 v255, v4, v2 :: v_dual_fmac_f32 v7, v1, v3
// GFX1250: v_dual_lshlrev_b32 v255, v4, v2 :: v_dual_fmac_f32 v7, v1, v3 ; encoding: [0x04,0x01,0x44,0xcf,0x01,0x01,0x02,0x00,0xff,0x03,0x00,0x07]
// W64-ERR: :[[@LINE-2]]:1: error: instruction requires wavesize=32

v_dual_lshlrev_b32 v255, v1, v2 :: v_dual_fmac_f32 v7, v255, v3
// GFX1250: v_dual_lshlrev_b32 v255, v1, v2 :: v_dual_fmac_f32 v7, v255, v3 ; encoding: [0x01,0x01,0x44,0xcf,0xff,0x01,0x02,0x00,0xff,0x03,0x00,0x07]
	;; [unrolled: 4-line block ×7, first 2 shown]
// W64-ERR: :[[@LINE-2]]:1: error: instruction requires wavesize=32

v_dual_lshlrev_b32 v255, ttmp15, v2 :: v_dual_fmac_f32 v7, vcc_lo, v3
// GFX1250: v_dual_lshlrev_b32 v255, ttmp15, v2 :: v_dual_fmac_f32 v7, vcc_lo, v3 ; encoding: [0x7b,0x00,0x44,0xcf,0x6a,0x00,0x02,0x00,0xff,0x03,0x00,0x07]
// W64-ERR: :[[@LINE-2]]:1: error: instruction requires wavesize=32

v_dual_lshlrev_b32 v255, exec_hi, v2 :: v_dual_fmac_f32 v7, vcc_hi, v3
// GFX1250: v_dual_lshlrev_b32 v255, exec_hi, v2 :: v_dual_fmac_f32 v7, vcc_hi, v3 ; encoding: [0x7f,0x00,0x44,0xcf,0x6b,0x00,0x02,0x00,0xff,0x03,0x00,0x07]
// W64-ERR: :[[@LINE-2]]:1: error: instruction requires wavesize=32

v_dual_lshlrev_b32 v255, exec_lo, v2 :: v_dual_fmac_f32 v7, ttmp15, v3
// GFX1250: v_dual_lshlrev_b32 v255, exec_lo, v2 :: v_dual_fmac_f32 v7, ttmp15, v3 ; encoding: [0x7e,0x00,0x44,0xcf,0x7b,0x00,0x02,0x00,0xff,0x03,0x00,0x07]
// W64-ERR: :[[@LINE-2]]:1: error: instruction requires wavesize=32

v_dual_lshlrev_b32 v255, m0, v2 :: v_dual_fmac_f32 v7, m0, v3
// GFX1250: v_dual_lshlrev_b32 v255, m0, v2 :: v_dual_fmac_f32 v7, m0, v3 ; encoding: [0x7d,0x00,0x44,0xcf,0x7d,0x00,0x02,0x00,0xff,0x03,0x00,0x07]
// W64-ERR: :[[@LINE-2]]:1: error: instruction requires wavesize=32

v_dual_lshlrev_b32 v255, vcc_hi, v2 :: v_dual_fmac_f32 v7, exec_lo, v3
// GFX1250: v_dual_lshlrev_b32 v255, vcc_hi, v2 :: v_dual_fmac_f32 v7, exec_lo, v3 ; encoding: [0x6b,0x00,0x44,0xcf,0x7e,0x00,0x02,0x00,0xff,0x03,0x00,0x07]
// W64-ERR: :[[@LINE-2]]:1: error: instruction requires wavesize=32

v_dual_lshlrev_b32 v255, vcc_lo, v2 :: v_dual_fmac_f32 v7, exec_hi, v3
// GFX1250: v_dual_lshlrev_b32 v255, vcc_lo, v2 :: v_dual_fmac_f32 v7, exec_hi, v3 ; encoding: [0x6a,0x00,0x44,0xcf,0x7f,0x00,0x02,0x00,0xff,0x03,0x00,0x07]
// W64-ERR: :[[@LINE-2]]:1: error: instruction requires wavesize=32

v_dual_lshlrev_b32 v255, src_scc, v2 :: v_dual_fmac_f32 v7, -1, v3
// GFX1250: v_dual_lshlrev_b32 v255, src_scc, v2 :: v_dual_fmac_f32 v7, -1, v3 ; encoding: [0xfd,0x00,0x44,0xcf,0xc1,0x00,0x02,0x00,0xff,0x03,0x00,0x07]
// W64-ERR: :[[@LINE-2]]:1: error: instruction requires wavesize=32

v_dual_lshlrev_b32 v255, 0.5, v3 :: v_dual_fmac_f32 v7, 0.5, v2
// GFX1250: v_dual_lshlrev_b32 v255, 0.5, v3 :: v_dual_fmac_f32 v7, 0.5, v2 ; encoding: [0xf0,0x00,0x44,0xcf,0xf0,0x00,0x03,0x00,0xff,0x02,0x00,0x07]
// W64-ERR: :[[@LINE-2]]:1: error: instruction requires wavesize=32

v_dual_lshlrev_b32 v255, -1, v4 :: v_dual_fmac_f32 v7, src_scc, v5
// GFX1250: v_dual_lshlrev_b32 v255, -1, v4 :: v_dual_fmac_f32 v7, src_scc, v5 ; encoding: [0xc1,0x00,0x44,0xcf,0xfd,0x00,0x04,0x00,0xff,0x05,0x00,0x07]
// W64-ERR: :[[@LINE-2]]:1: error: instruction requires wavesize=32

v_dual_lshlrev_b32 v255, v4, v2 :: v_dual_lshlrev_b32 v7, v1, v3
// GFX1250: v_dual_lshlrev_b32 v255, v4, v2 :: v_dual_lshlrev_b32 v7, v1, v3 ; encoding: [0x04,0x11,0x45,0xcf,0x01,0x01,0x02,0x00,0xff,0x03,0x00,0x07]
// W64-ERR: :[[@LINE-2]]:1: error: instruction requires wavesize=32

v_dual_lshlrev_b32 v255, v1, v2 :: v_dual_lshlrev_b32 v7, v255, v3
// GFX1250: v_dual_lshlrev_b32 v255, v1, v2 :: v_dual_lshlrev_b32 v7, v255, v3 ; encoding: [0x01,0x11,0x45,0xcf,0xff,0x01,0x02,0x00,0xff,0x03,0x00,0x07]
// W64-ERR: :[[@LINE-2]]:1: error: instruction requires wavesize=32

v_dual_lshlrev_b32 v255, v255, v2 :: v_dual_lshlrev_b32 v7, v2, v3
// GFX1250: v_dual_lshlrev_b32 v255, v255, v2 :: v_dual_lshlrev_b32 v7, v2, v3 ; encoding: [0xff,0x11,0x45,0xcf,0x02,0x01,0x02,0x00,0xff,0x03,0x00,0x07]
// W64-ERR: :[[@LINE-2]]:1: error: instruction requires wavesize=32

v_dual_lshlrev_b32 v255, v2, v2 :: v_dual_lshlrev_b32 v7, v3, v3
// GFX1250: v_dual_lshlrev_b32 v255, v2, v2 :: v_dual_lshlrev_b32 v7, v3, v3 ; encoding: [0x02,0x11,0x45,0xcf,0x03,0x01,0x02,0x00,0xff,0x03,0x00,0x07]
// W64-ERR: :[[@LINE-2]]:1: error: instruction requires wavesize=32

v_dual_lshlrev_b32 v255, v3, v2 :: v_dual_lshlrev_b32 v7, v4, v3
// GFX1250: v_dual_lshlrev_b32 v255, v3, v2 :: v_dual_lshlrev_b32 v7, v4, v3 ; encoding: [0x03,0x11,0x45,0xcf,0x04,0x01,0x02,0x00,0xff,0x03,0x00,0x07]
// W64-ERR: :[[@LINE-2]]:1: error: instruction requires wavesize=32

v_dual_lshlrev_b32 v255, s105, v2 :: v_dual_lshlrev_b32 v7, s1, v3
// GFX1250: v_dual_lshlrev_b32 v255, s105, v2 :: v_dual_lshlrev_b32 v7, s1, v3 ; encoding: [0x69,0x10,0x45,0xcf,0x01,0x00,0x02,0x00,0xff,0x03,0x00,0x07]
// W64-ERR: :[[@LINE-2]]:1: error: instruction requires wavesize=32

v_dual_lshlrev_b32 v255, s1, v2 :: v_dual_lshlrev_b32 v7, s105, v3
// GFX1250: v_dual_lshlrev_b32 v255, s1, v2 :: v_dual_lshlrev_b32 v7, s105, v3 ; encoding: [0x01,0x10,0x45,0xcf,0x69,0x00,0x02,0x00,0xff,0x03,0x00,0x07]
// W64-ERR: :[[@LINE-2]]:1: error: instruction requires wavesize=32

v_dual_lshlrev_b32 v255, ttmp15, v2 :: v_dual_lshlrev_b32 v7, vcc_lo, v3
// GFX1250: v_dual_lshlrev_b32 v255, ttmp15, v2 :: v_dual_lshlrev_b32 v7, vcc_lo, v3 ; encoding: [0x7b,0x10,0x45,0xcf,0x6a,0x00,0x02,0x00,0xff,0x03,0x00,0x07]
// W64-ERR: :[[@LINE-2]]:1: error: instruction requires wavesize=32

v_dual_lshlrev_b32 v255, exec_hi, v2 :: v_dual_lshlrev_b32 v7, vcc_hi, v3
// GFX1250: v_dual_lshlrev_b32 v255, exec_hi, v2 :: v_dual_lshlrev_b32 v7, vcc_hi, v3 ; encoding: [0x7f,0x10,0x45,0xcf,0x6b,0x00,0x02,0x00,0xff,0x03,0x00,0x07]
// W64-ERR: :[[@LINE-2]]:1: error: instruction requires wavesize=32

v_dual_lshlrev_b32 v255, exec_lo, v2 :: v_dual_lshlrev_b32 v7, ttmp15, v3
// GFX1250: v_dual_lshlrev_b32 v255, exec_lo, v2 :: v_dual_lshlrev_b32 v7, ttmp15, v3 ; encoding: [0x7e,0x10,0x45,0xcf,0x7b,0x00,0x02,0x00,0xff,0x03,0x00,0x07]
// W64-ERR: :[[@LINE-2]]:1: error: instruction requires wavesize=32

v_dual_lshlrev_b32 v255, m0, v2 :: v_dual_lshlrev_b32 v7, m0, v3
// GFX1250: v_dual_lshlrev_b32 v255, m0, v2 :: v_dual_lshlrev_b32 v7, m0, v3 ; encoding: [0x7d,0x10,0x45,0xcf,0x7d,0x00,0x02,0x00,0xff,0x03,0x00,0x07]
// W64-ERR: :[[@LINE-2]]:1: error: instruction requires wavesize=32

v_dual_lshlrev_b32 v255, vcc_hi, v2 :: v_dual_lshlrev_b32 v7, exec_lo, v3
// GFX1250: v_dual_lshlrev_b32 v255, vcc_hi, v2 :: v_dual_lshlrev_b32 v7, exec_lo, v3 ; encoding: [0x6b,0x10,0x45,0xcf,0x7e,0x00,0x02,0x00,0xff,0x03,0x00,0x07]
// W64-ERR: :[[@LINE-2]]:1: error: instruction requires wavesize=32

v_dual_lshlrev_b32 v255, vcc_lo, v2 :: v_dual_lshlrev_b32 v7, exec_hi, v3
// GFX1250: v_dual_lshlrev_b32 v255, vcc_lo, v2 :: v_dual_lshlrev_b32 v7, exec_hi, v3 ; encoding: [0x6a,0x10,0x45,0xcf,0x7f,0x00,0x02,0x00,0xff,0x03,0x00,0x07]
// W64-ERR: :[[@LINE-2]]:1: error: instruction requires wavesize=32

v_dual_lshlrev_b32 v255, src_scc, v2 :: v_dual_lshlrev_b32 v7, -1, v3
// GFX1250: v_dual_lshlrev_b32 v255, src_scc, v2 :: v_dual_lshlrev_b32 v7, -1, v3 ; encoding: [0xfd,0x10,0x45,0xcf,0xc1,0x00,0x02,0x00,0xff,0x03,0x00,0x07]
// W64-ERR: :[[@LINE-2]]:1: error: instruction requires wavesize=32

v_dual_lshlrev_b32 v255, 0.5, v3 :: v_dual_lshlrev_b32 v7, 0.5, v2
// GFX1250: v_dual_lshlrev_b32 v255, 0.5, v3 :: v_dual_lshlrev_b32 v7, 0.5, v2 ; encoding: [0xf0,0x10,0x45,0xcf,0xf0,0x00,0x03,0x00,0xff,0x02,0x00,0x07]
// W64-ERR: :[[@LINE-2]]:1: error: instruction requires wavesize=32

v_dual_lshlrev_b32 v255, -1, v4 :: v_dual_lshlrev_b32 v7, src_scc, v5
// GFX1250: v_dual_lshlrev_b32 v255, -1, v4 :: v_dual_lshlrev_b32 v7, src_scc, v5 ; encoding: [0xc1,0x10,0x45,0xcf,0xfd,0x00,0x04,0x00,0xff,0x05,0x00,0x07]
// W64-ERR: :[[@LINE-2]]:1: error: instruction requires wavesize=32

v_dual_lshlrev_b32 v255, v4, v2 :: v_dual_max_num_f32 v7, v1, v3
// GFX1250: v_dual_lshlrev_b32 v255, v4, v2 :: v_dual_max_num_f32 v7, v1, v3 ; encoding: [0x04,0xa1,0x44,0xcf,0x01,0x01,0x02,0x00,0xff,0x03,0x00,0x07]
// W64-ERR: :[[@LINE-2]]:1: error: instruction requires wavesize=32

v_dual_lshlrev_b32 v255, v1, v2 :: v_dual_max_num_f32 v7, v255, v3
// GFX1250: v_dual_lshlrev_b32 v255, v1, v2 :: v_dual_max_num_f32 v7, v255, v3 ; encoding: [0x01,0xa1,0x44,0xcf,0xff,0x01,0x02,0x00,0xff,0x03,0x00,0x07]
	;; [unrolled: 4-line block ×7, first 2 shown]
// W64-ERR: :[[@LINE-2]]:1: error: instruction requires wavesize=32

v_dual_lshlrev_b32 v255, ttmp15, v2 :: v_dual_max_num_f32 v7, vcc_lo, v3
// GFX1250: v_dual_lshlrev_b32 v255, ttmp15, v2 :: v_dual_max_num_f32 v7, vcc_lo, v3 ; encoding: [0x7b,0xa0,0x44,0xcf,0x6a,0x00,0x02,0x00,0xff,0x03,0x00,0x07]
// W64-ERR: :[[@LINE-2]]:1: error: instruction requires wavesize=32

v_dual_lshlrev_b32 v255, exec_hi, v2 :: v_dual_max_num_f32 v7, vcc_hi, v3
// GFX1250: v_dual_lshlrev_b32 v255, exec_hi, v2 :: v_dual_max_num_f32 v7, vcc_hi, v3 ; encoding: [0x7f,0xa0,0x44,0xcf,0x6b,0x00,0x02,0x00,0xff,0x03,0x00,0x07]
// W64-ERR: :[[@LINE-2]]:1: error: instruction requires wavesize=32

v_dual_lshlrev_b32 v255, exec_lo, v2 :: v_dual_max_num_f32 v7, ttmp15, v3
// GFX1250: v_dual_lshlrev_b32 v255, exec_lo, v2 :: v_dual_max_num_f32 v7, ttmp15, v3 ; encoding: [0x7e,0xa0,0x44,0xcf,0x7b,0x00,0x02,0x00,0xff,0x03,0x00,0x07]
// W64-ERR: :[[@LINE-2]]:1: error: instruction requires wavesize=32

v_dual_lshlrev_b32 v255, m0, v2 :: v_dual_max_num_f32 v7, m0, v3
// GFX1250: v_dual_lshlrev_b32 v255, m0, v2 :: v_dual_max_num_f32 v7, m0, v3 ; encoding: [0x7d,0xa0,0x44,0xcf,0x7d,0x00,0x02,0x00,0xff,0x03,0x00,0x07]
// W64-ERR: :[[@LINE-2]]:1: error: instruction requires wavesize=32

v_dual_lshlrev_b32 v255, vcc_hi, v2 :: v_dual_max_num_f32 v7, exec_lo, v3
// GFX1250: v_dual_lshlrev_b32 v255, vcc_hi, v2 :: v_dual_max_num_f32 v7, exec_lo, v3 ; encoding: [0x6b,0xa0,0x44,0xcf,0x7e,0x00,0x02,0x00,0xff,0x03,0x00,0x07]
// W64-ERR: :[[@LINE-2]]:1: error: instruction requires wavesize=32

v_dual_lshlrev_b32 v255, vcc_lo, v2 :: v_dual_max_num_f32 v7, exec_hi, v3
// GFX1250: v_dual_lshlrev_b32 v255, vcc_lo, v2 :: v_dual_max_num_f32 v7, exec_hi, v3 ; encoding: [0x6a,0xa0,0x44,0xcf,0x7f,0x00,0x02,0x00,0xff,0x03,0x00,0x07]
// W64-ERR: :[[@LINE-2]]:1: error: instruction requires wavesize=32

v_dual_lshlrev_b32 v255, src_scc, v2 :: v_dual_max_num_f32 v7, -1, v3
// GFX1250: v_dual_lshlrev_b32 v255, src_scc, v2 :: v_dual_max_num_f32 v7, -1, v3 ; encoding: [0xfd,0xa0,0x44,0xcf,0xc1,0x00,0x02,0x00,0xff,0x03,0x00,0x07]
// W64-ERR: :[[@LINE-2]]:1: error: instruction requires wavesize=32

v_dual_lshlrev_b32 v255, 0.5, v3 :: v_dual_max_num_f32 v7, 0.5, v2
// GFX1250: v_dual_lshlrev_b32 v255, 0.5, v3 :: v_dual_max_num_f32 v7, 0.5, v2 ; encoding: [0xf0,0xa0,0x44,0xcf,0xf0,0x00,0x03,0x00,0xff,0x02,0x00,0x07]
// W64-ERR: :[[@LINE-2]]:1: error: instruction requires wavesize=32

v_dual_lshlrev_b32 v255, -1, v4 :: v_dual_max_num_f32 v7, src_scc, v5
// GFX1250: v_dual_lshlrev_b32 v255, -1, v4 :: v_dual_max_num_f32 v7, src_scc, v5 ; encoding: [0xc1,0xa0,0x44,0xcf,0xfd,0x00,0x04,0x00,0xff,0x05,0x00,0x07]
// W64-ERR: :[[@LINE-2]]:1: error: instruction requires wavesize=32

v_dual_lshlrev_b32 v255, v4, v2 :: v_dual_min_num_f32 v7, v1, v3
// GFX1250: v_dual_lshlrev_b32 v255, v4, v2 :: v_dual_min_num_f32 v7, v1, v3 ; encoding: [0x04,0xb1,0x44,0xcf,0x01,0x01,0x02,0x00,0xff,0x03,0x00,0x07]
// W64-ERR: :[[@LINE-2]]:1: error: instruction requires wavesize=32

v_dual_lshlrev_b32 v255, v1, v2 :: v_dual_min_num_f32 v7, v255, v3
// GFX1250: v_dual_lshlrev_b32 v255, v1, v2 :: v_dual_min_num_f32 v7, v255, v3 ; encoding: [0x01,0xb1,0x44,0xcf,0xff,0x01,0x02,0x00,0xff,0x03,0x00,0x07]
	;; [unrolled: 4-line block ×7, first 2 shown]
// W64-ERR: :[[@LINE-2]]:1: error: instruction requires wavesize=32

v_dual_lshlrev_b32 v255, ttmp15, v2 :: v_dual_min_num_f32 v7, vcc_lo, v3
// GFX1250: v_dual_lshlrev_b32 v255, ttmp15, v2 :: v_dual_min_num_f32 v7, vcc_lo, v3 ; encoding: [0x7b,0xb0,0x44,0xcf,0x6a,0x00,0x02,0x00,0xff,0x03,0x00,0x07]
// W64-ERR: :[[@LINE-2]]:1: error: instruction requires wavesize=32

v_dual_lshlrev_b32 v255, exec_hi, v2 :: v_dual_min_num_f32 v7, vcc_hi, v3
// GFX1250: v_dual_lshlrev_b32 v255, exec_hi, v2 :: v_dual_min_num_f32 v7, vcc_hi, v3 ; encoding: [0x7f,0xb0,0x44,0xcf,0x6b,0x00,0x02,0x00,0xff,0x03,0x00,0x07]
// W64-ERR: :[[@LINE-2]]:1: error: instruction requires wavesize=32

v_dual_lshlrev_b32 v255, exec_lo, v2 :: v_dual_min_num_f32 v7, ttmp15, v3
// GFX1250: v_dual_lshlrev_b32 v255, exec_lo, v2 :: v_dual_min_num_f32 v7, ttmp15, v3 ; encoding: [0x7e,0xb0,0x44,0xcf,0x7b,0x00,0x02,0x00,0xff,0x03,0x00,0x07]
// W64-ERR: :[[@LINE-2]]:1: error: instruction requires wavesize=32

v_dual_lshlrev_b32 v255, m0, v2 :: v_dual_min_num_f32 v7, m0, v3
// GFX1250: v_dual_lshlrev_b32 v255, m0, v2 :: v_dual_min_num_f32 v7, m0, v3 ; encoding: [0x7d,0xb0,0x44,0xcf,0x7d,0x00,0x02,0x00,0xff,0x03,0x00,0x07]
// W64-ERR: :[[@LINE-2]]:1: error: instruction requires wavesize=32

v_dual_lshlrev_b32 v255, vcc_hi, v2 :: v_dual_min_num_f32 v7, exec_lo, v3
// GFX1250: v_dual_lshlrev_b32 v255, vcc_hi, v2 :: v_dual_min_num_f32 v7, exec_lo, v3 ; encoding: [0x6b,0xb0,0x44,0xcf,0x7e,0x00,0x02,0x00,0xff,0x03,0x00,0x07]
// W64-ERR: :[[@LINE-2]]:1: error: instruction requires wavesize=32

v_dual_lshlrev_b32 v255, vcc_lo, v2 :: v_dual_min_num_f32 v7, exec_hi, v3
// GFX1250: v_dual_lshlrev_b32 v255, vcc_lo, v2 :: v_dual_min_num_f32 v7, exec_hi, v3 ; encoding: [0x6a,0xb0,0x44,0xcf,0x7f,0x00,0x02,0x00,0xff,0x03,0x00,0x07]
// W64-ERR: :[[@LINE-2]]:1: error: instruction requires wavesize=32

v_dual_lshlrev_b32 v255, src_scc, v2 :: v_dual_min_num_f32 v7, -1, v3
// GFX1250: v_dual_lshlrev_b32 v255, src_scc, v2 :: v_dual_min_num_f32 v7, -1, v3 ; encoding: [0xfd,0xb0,0x44,0xcf,0xc1,0x00,0x02,0x00,0xff,0x03,0x00,0x07]
// W64-ERR: :[[@LINE-2]]:1: error: instruction requires wavesize=32

v_dual_lshlrev_b32 v255, 0.5, v3 :: v_dual_min_num_f32 v7, 0.5, v2
// GFX1250: v_dual_lshlrev_b32 v255, 0.5, v3 :: v_dual_min_num_f32 v7, 0.5, v2 ; encoding: [0xf0,0xb0,0x44,0xcf,0xf0,0x00,0x03,0x00,0xff,0x02,0x00,0x07]
// W64-ERR: :[[@LINE-2]]:1: error: instruction requires wavesize=32

v_dual_lshlrev_b32 v255, -1, v4 :: v_dual_min_num_f32 v7, src_scc, v5
// GFX1250: v_dual_lshlrev_b32 v255, -1, v4 :: v_dual_min_num_f32 v7, src_scc, v5 ; encoding: [0xc1,0xb0,0x44,0xcf,0xfd,0x00,0x04,0x00,0xff,0x05,0x00,0x07]
// W64-ERR: :[[@LINE-2]]:1: error: instruction requires wavesize=32

v_dual_lshlrev_b32 v255, v4, v255 :: v_dual_mov_b32 v7, v1
// GFX1250: v_dual_lshlrev_b32 v255, v4, v255 :: v_dual_mov_b32 v7, v1 ; encoding: [0x04,0x81,0x44,0xcf,0x01,0x01,0xff,0x00,0xff,0x00,0x00,0x07]
// W64-ERR: :[[@LINE-2]]:1: error: instruction requires wavesize=32

v_dual_lshlrev_b32 v255, v1, v255 :: v_dual_mov_b32 v7, v255
// GFX1250: v_dual_lshlrev_b32 v255, v1, v255 :: v_dual_mov_b32 v7, v255 ; encoding: [0x01,0x81,0x44,0xcf,0xff,0x01,0xff,0x00,0xff,0x00,0x00,0x07]
	;; [unrolled: 4-line block ×7, first 2 shown]
// W64-ERR: :[[@LINE-2]]:1: error: instruction requires wavesize=32

v_dual_lshlrev_b32 v255, ttmp15, v255 :: v_dual_mov_b32 v7, vcc_lo
// GFX1250: v_dual_lshlrev_b32 v255, ttmp15, v255 :: v_dual_mov_b32 v7, vcc_lo ; encoding: [0x7b,0x80,0x44,0xcf,0x6a,0x00,0xff,0x00,0xff,0x00,0x00,0x07]
// W64-ERR: :[[@LINE-2]]:1: error: instruction requires wavesize=32

v_dual_lshlrev_b32 v255, exec_hi, v255 :: v_dual_mov_b32 v7, vcc_hi
// GFX1250: v_dual_lshlrev_b32 v255, exec_hi, v255 :: v_dual_mov_b32 v7, vcc_hi ; encoding: [0x7f,0x80,0x44,0xcf,0x6b,0x00,0xff,0x00,0xff,0x00,0x00,0x07]
// W64-ERR: :[[@LINE-2]]:1: error: instruction requires wavesize=32

v_dual_lshlrev_b32 v255, exec_lo, v255 :: v_dual_mov_b32 v7, ttmp15
// GFX1250: v_dual_lshlrev_b32 v255, exec_lo, v255 :: v_dual_mov_b32 v7, ttmp15 ; encoding: [0x7e,0x80,0x44,0xcf,0x7b,0x00,0xff,0x00,0xff,0x00,0x00,0x07]
// W64-ERR: :[[@LINE-2]]:1: error: instruction requires wavesize=32

v_dual_lshlrev_b32 v255, m0, v255 :: v_dual_mov_b32 v7, m0
// GFX1250: v_dual_lshlrev_b32 v255, m0, v255 :: v_dual_mov_b32 v7, m0 ; encoding: [0x7d,0x80,0x44,0xcf,0x7d,0x00,0xff,0x00,0xff,0x00,0x00,0x07]
// W64-ERR: :[[@LINE-2]]:1: error: instruction requires wavesize=32

v_dual_lshlrev_b32 v255, vcc_hi, v255 :: v_dual_mov_b32 v7, exec_lo
// GFX1250: v_dual_lshlrev_b32 v255, vcc_hi, v255 :: v_dual_mov_b32 v7, exec_lo ; encoding: [0x6b,0x80,0x44,0xcf,0x7e,0x00,0xff,0x00,0xff,0x00,0x00,0x07]
// W64-ERR: :[[@LINE-2]]:1: error: instruction requires wavesize=32

v_dual_lshlrev_b32 v255, vcc_lo, v255 :: v_dual_mov_b32 v7, exec_hi
// GFX1250: v_dual_lshlrev_b32 v255, vcc_lo, v255 :: v_dual_mov_b32 v7, exec_hi ; encoding: [0x6a,0x80,0x44,0xcf,0x7f,0x00,0xff,0x00,0xff,0x00,0x00,0x07]
// W64-ERR: :[[@LINE-2]]:1: error: instruction requires wavesize=32

v_dual_lshlrev_b32 v255, src_scc, v255 :: v_dual_mov_b32 v7, -1
// GFX1250: v_dual_lshlrev_b32 v255, src_scc, v255 :: v_dual_mov_b32 v7, -1 ; encoding: [0xfd,0x80,0x44,0xcf,0xc1,0x00,0xff,0x00,0xff,0x00,0x00,0x07]
// W64-ERR: :[[@LINE-2]]:1: error: instruction requires wavesize=32

v_dual_lshlrev_b32 v255, 0.5, v3 :: v_dual_mov_b32 v7, 0.5
// GFX1250: v_dual_lshlrev_b32 v255, 0.5, v3 :: v_dual_mov_b32 v7, 0.5 ; encoding: [0xf0,0x80,0x44,0xcf,0xf0,0x00,0x03,0x00,0xff,0x00,0x00,0x07]
// W64-ERR: :[[@LINE-2]]:1: error: instruction requires wavesize=32

v_dual_lshlrev_b32 v255, -1, v4 :: v_dual_mov_b32 v7, src_scc
// GFX1250: v_dual_lshlrev_b32 v255, -1, v4 :: v_dual_mov_b32 v7, src_scc ; encoding: [0xc1,0x80,0x44,0xcf,0xfd,0x00,0x04,0x00,0xff,0x00,0x00,0x07]
// W64-ERR: :[[@LINE-2]]:1: error: instruction requires wavesize=32

v_dual_lshlrev_b32 v255, v4, v2 :: v_dual_mul_dx9_zero_f32 v7, v1, v3
// GFX1250: v_dual_lshlrev_b32 v255, v4, v2 :: v_dual_mul_dx9_zero_f32 v7, v1, v3 ; encoding: [0x04,0x71,0x44,0xcf,0x01,0x01,0x02,0x00,0xff,0x03,0x00,0x07]
// W64-ERR: :[[@LINE-2]]:1: error: instruction requires wavesize=32

v_dual_lshlrev_b32 v255, v1, v2 :: v_dual_mul_dx9_zero_f32 v7, v255, v3
// GFX1250: v_dual_lshlrev_b32 v255, v1, v2 :: v_dual_mul_dx9_zero_f32 v7, v255, v3 ; encoding: [0x01,0x71,0x44,0xcf,0xff,0x01,0x02,0x00,0xff,0x03,0x00,0x07]
	;; [unrolled: 4-line block ×7, first 2 shown]
// W64-ERR: :[[@LINE-2]]:1: error: instruction requires wavesize=32

v_dual_lshlrev_b32 v255, ttmp15, v2 :: v_dual_mul_dx9_zero_f32 v7, vcc_lo, v3
// GFX1250: v_dual_lshlrev_b32 v255, ttmp15, v2 :: v_dual_mul_dx9_zero_f32 v7, vcc_lo, v3 ; encoding: [0x7b,0x70,0x44,0xcf,0x6a,0x00,0x02,0x00,0xff,0x03,0x00,0x07]
// W64-ERR: :[[@LINE-2]]:1: error: instruction requires wavesize=32

v_dual_lshlrev_b32 v255, exec_hi, v2 :: v_dual_mul_dx9_zero_f32 v7, vcc_hi, v3
// GFX1250: v_dual_lshlrev_b32 v255, exec_hi, v2 :: v_dual_mul_dx9_zero_f32 v7, vcc_hi, v3 ; encoding: [0x7f,0x70,0x44,0xcf,0x6b,0x00,0x02,0x00,0xff,0x03,0x00,0x07]
// W64-ERR: :[[@LINE-2]]:1: error: instruction requires wavesize=32

v_dual_lshlrev_b32 v255, exec_lo, v2 :: v_dual_mul_dx9_zero_f32 v7, ttmp15, v3
// GFX1250: v_dual_lshlrev_b32 v255, exec_lo, v2 :: v_dual_mul_dx9_zero_f32 v7, ttmp15, v3 ; encoding: [0x7e,0x70,0x44,0xcf,0x7b,0x00,0x02,0x00,0xff,0x03,0x00,0x07]
// W64-ERR: :[[@LINE-2]]:1: error: instruction requires wavesize=32

v_dual_lshlrev_b32 v255, m0, v2 :: v_dual_mul_dx9_zero_f32 v7, m0, v3
// GFX1250: v_dual_lshlrev_b32 v255, m0, v2 :: v_dual_mul_dx9_zero_f32 v7, m0, v3 ; encoding: [0x7d,0x70,0x44,0xcf,0x7d,0x00,0x02,0x00,0xff,0x03,0x00,0x07]
// W64-ERR: :[[@LINE-2]]:1: error: instruction requires wavesize=32

v_dual_lshlrev_b32 v255, vcc_hi, v2 :: v_dual_mul_dx9_zero_f32 v7, exec_lo, v3
// GFX1250: v_dual_lshlrev_b32 v255, vcc_hi, v2 :: v_dual_mul_dx9_zero_f32 v7, exec_lo, v3 ; encoding: [0x6b,0x70,0x44,0xcf,0x7e,0x00,0x02,0x00,0xff,0x03,0x00,0x07]
// W64-ERR: :[[@LINE-2]]:1: error: instruction requires wavesize=32

v_dual_lshlrev_b32 v255, vcc_lo, v2 :: v_dual_mul_dx9_zero_f32 v7, exec_hi, v3
// GFX1250: v_dual_lshlrev_b32 v255, vcc_lo, v2 :: v_dual_mul_dx9_zero_f32 v7, exec_hi, v3 ; encoding: [0x6a,0x70,0x44,0xcf,0x7f,0x00,0x02,0x00,0xff,0x03,0x00,0x07]
// W64-ERR: :[[@LINE-2]]:1: error: instruction requires wavesize=32

v_dual_lshlrev_b32 v255, src_scc, v2 :: v_dual_mul_dx9_zero_f32 v7, -1, v3
// GFX1250: v_dual_lshlrev_b32 v255, src_scc, v2 :: v_dual_mul_dx9_zero_f32 v7, -1, v3 ; encoding: [0xfd,0x70,0x44,0xcf,0xc1,0x00,0x02,0x00,0xff,0x03,0x00,0x07]
// W64-ERR: :[[@LINE-2]]:1: error: instruction requires wavesize=32

v_dual_lshlrev_b32 v255, 0.5, v3 :: v_dual_mul_dx9_zero_f32 v7, 0.5, v2
// GFX1250: v_dual_lshlrev_b32 v255, 0.5, v3 :: v_dual_mul_dx9_zero_f32 v7, 0.5, v2 ; encoding: [0xf0,0x70,0x44,0xcf,0xf0,0x00,0x03,0x00,0xff,0x02,0x00,0x07]
// W64-ERR: :[[@LINE-2]]:1: error: instruction requires wavesize=32

v_dual_lshlrev_b32 v255, -1, v4 :: v_dual_mul_dx9_zero_f32 v7, src_scc, v5
// GFX1250: v_dual_lshlrev_b32 v255, -1, v4 :: v_dual_mul_dx9_zero_f32 v7, src_scc, v5 ; encoding: [0xc1,0x70,0x44,0xcf,0xfd,0x00,0x04,0x00,0xff,0x05,0x00,0x07]
// W64-ERR: :[[@LINE-2]]:1: error: instruction requires wavesize=32

v_dual_lshlrev_b32 v255, v4, v2 :: v_dual_mul_f32 v7, v1, v3
// GFX1250: v_dual_lshlrev_b32 v255, v4, v2 :: v_dual_mul_f32 v7, v1, v3 ; encoding: [0x04,0x31,0x44,0xcf,0x01,0x01,0x02,0x00,0xff,0x03,0x00,0x07]
// W64-ERR: :[[@LINE-2]]:1: error: instruction requires wavesize=32

v_dual_lshlrev_b32 v255, v1, v2 :: v_dual_mul_f32 v7, v255, v3
// GFX1250: v_dual_lshlrev_b32 v255, v1, v2 :: v_dual_mul_f32 v7, v255, v3 ; encoding: [0x01,0x31,0x44,0xcf,0xff,0x01,0x02,0x00,0xff,0x03,0x00,0x07]
	;; [unrolled: 4-line block ×7, first 2 shown]
// W64-ERR: :[[@LINE-2]]:1: error: instruction requires wavesize=32

v_dual_lshlrev_b32 v255, ttmp15, v2 :: v_dual_mul_f32 v7, vcc_lo, v3
// GFX1250: v_dual_lshlrev_b32 v255, ttmp15, v2 :: v_dual_mul_f32 v7, vcc_lo, v3 ; encoding: [0x7b,0x30,0x44,0xcf,0x6a,0x00,0x02,0x00,0xff,0x03,0x00,0x07]
// W64-ERR: :[[@LINE-2]]:1: error: instruction requires wavesize=32

v_dual_lshlrev_b32 v255, exec_hi, v2 :: v_dual_mul_f32 v7, vcc_hi, v3
// GFX1250: v_dual_lshlrev_b32 v255, exec_hi, v2 :: v_dual_mul_f32 v7, vcc_hi, v3 ; encoding: [0x7f,0x30,0x44,0xcf,0x6b,0x00,0x02,0x00,0xff,0x03,0x00,0x07]
// W64-ERR: :[[@LINE-2]]:1: error: instruction requires wavesize=32

v_dual_lshlrev_b32 v255, exec_lo, v2 :: v_dual_mul_f32 v7, ttmp15, v3
// GFX1250: v_dual_lshlrev_b32 v255, exec_lo, v2 :: v_dual_mul_f32 v7, ttmp15, v3 ; encoding: [0x7e,0x30,0x44,0xcf,0x7b,0x00,0x02,0x00,0xff,0x03,0x00,0x07]
// W64-ERR: :[[@LINE-2]]:1: error: instruction requires wavesize=32

v_dual_lshlrev_b32 v255, m0, v2 :: v_dual_mul_f32 v7, m0, v3
// GFX1250: v_dual_lshlrev_b32 v255, m0, v2 :: v_dual_mul_f32 v7, m0, v3 ; encoding: [0x7d,0x30,0x44,0xcf,0x7d,0x00,0x02,0x00,0xff,0x03,0x00,0x07]
// W64-ERR: :[[@LINE-2]]:1: error: instruction requires wavesize=32

v_dual_lshlrev_b32 v255, vcc_hi, v2 :: v_dual_mul_f32 v7, exec_lo, v3
// GFX1250: v_dual_lshlrev_b32 v255, vcc_hi, v2 :: v_dual_mul_f32 v7, exec_lo, v3 ; encoding: [0x6b,0x30,0x44,0xcf,0x7e,0x00,0x02,0x00,0xff,0x03,0x00,0x07]
// W64-ERR: :[[@LINE-2]]:1: error: instruction requires wavesize=32

v_dual_lshlrev_b32 v255, vcc_lo, v2 :: v_dual_mul_f32 v7, exec_hi, v3
// GFX1250: v_dual_lshlrev_b32 v255, vcc_lo, v2 :: v_dual_mul_f32 v7, exec_hi, v3 ; encoding: [0x6a,0x30,0x44,0xcf,0x7f,0x00,0x02,0x00,0xff,0x03,0x00,0x07]
// W64-ERR: :[[@LINE-2]]:1: error: instruction requires wavesize=32

v_dual_lshlrev_b32 v255, src_scc, v2 :: v_dual_mul_f32 v7, -1, v3
// GFX1250: v_dual_lshlrev_b32 v255, src_scc, v2 :: v_dual_mul_f32 v7, -1, v3 ; encoding: [0xfd,0x30,0x44,0xcf,0xc1,0x00,0x02,0x00,0xff,0x03,0x00,0x07]
// W64-ERR: :[[@LINE-2]]:1: error: instruction requires wavesize=32

v_dual_lshlrev_b32 v255, 0.5, v3 :: v_dual_mul_f32 v7, 0.5, v2
// GFX1250: v_dual_lshlrev_b32 v255, 0.5, v3 :: v_dual_mul_f32 v7, 0.5, v2 ; encoding: [0xf0,0x30,0x44,0xcf,0xf0,0x00,0x03,0x00,0xff,0x02,0x00,0x07]
// W64-ERR: :[[@LINE-2]]:1: error: instruction requires wavesize=32

v_dual_lshlrev_b32 v255, -1, v4 :: v_dual_mul_f32 v7, src_scc, v5
// GFX1250: v_dual_lshlrev_b32 v255, -1, v4 :: v_dual_mul_f32 v7, src_scc, v5 ; encoding: [0xc1,0x30,0x44,0xcf,0xfd,0x00,0x04,0x00,0xff,0x05,0x00,0x07]
// W64-ERR: :[[@LINE-2]]:1: error: instruction requires wavesize=32

v_dual_lshlrev_b32 v255, v4, v2 :: v_dual_sub_f32 v7, v1, v3
// GFX1250: v_dual_lshlrev_b32 v255, v4, v2 :: v_dual_sub_f32 v7, v1, v3 ; encoding: [0x04,0x51,0x44,0xcf,0x01,0x01,0x02,0x00,0xff,0x03,0x00,0x07]
// W64-ERR: :[[@LINE-2]]:1: error: instruction requires wavesize=32

v_dual_lshlrev_b32 v255, v1, v2 :: v_dual_sub_f32 v7, v255, v3
// GFX1250: v_dual_lshlrev_b32 v255, v1, v2 :: v_dual_sub_f32 v7, v255, v3 ; encoding: [0x01,0x51,0x44,0xcf,0xff,0x01,0x02,0x00,0xff,0x03,0x00,0x07]
	;; [unrolled: 4-line block ×7, first 2 shown]
// W64-ERR: :[[@LINE-2]]:1: error: instruction requires wavesize=32

v_dual_lshlrev_b32 v255, ttmp15, v2 :: v_dual_sub_f32 v7, vcc_lo, v3
// GFX1250: v_dual_lshlrev_b32 v255, ttmp15, v2 :: v_dual_sub_f32 v7, vcc_lo, v3 ; encoding: [0x7b,0x50,0x44,0xcf,0x6a,0x00,0x02,0x00,0xff,0x03,0x00,0x07]
// W64-ERR: :[[@LINE-2]]:1: error: instruction requires wavesize=32

v_dual_lshlrev_b32 v255, exec_hi, v2 :: v_dual_sub_f32 v7, vcc_hi, v3
// GFX1250: v_dual_lshlrev_b32 v255, exec_hi, v2 :: v_dual_sub_f32 v7, vcc_hi, v3 ; encoding: [0x7f,0x50,0x44,0xcf,0x6b,0x00,0x02,0x00,0xff,0x03,0x00,0x07]
// W64-ERR: :[[@LINE-2]]:1: error: instruction requires wavesize=32

v_dual_lshlrev_b32 v255, exec_lo, v2 :: v_dual_sub_f32 v7, ttmp15, v3
// GFX1250: v_dual_lshlrev_b32 v255, exec_lo, v2 :: v_dual_sub_f32 v7, ttmp15, v3 ; encoding: [0x7e,0x50,0x44,0xcf,0x7b,0x00,0x02,0x00,0xff,0x03,0x00,0x07]
// W64-ERR: :[[@LINE-2]]:1: error: instruction requires wavesize=32

v_dual_lshlrev_b32 v255, m0, v2 :: v_dual_sub_f32 v7, m0, v3
// GFX1250: v_dual_lshlrev_b32 v255, m0, v2 :: v_dual_sub_f32 v7, m0, v3 ; encoding: [0x7d,0x50,0x44,0xcf,0x7d,0x00,0x02,0x00,0xff,0x03,0x00,0x07]
// W64-ERR: :[[@LINE-2]]:1: error: instruction requires wavesize=32

v_dual_lshlrev_b32 v255, vcc_hi, v2 :: v_dual_sub_f32 v7, exec_lo, v3
// GFX1250: v_dual_lshlrev_b32 v255, vcc_hi, v2 :: v_dual_sub_f32 v7, exec_lo, v3 ; encoding: [0x6b,0x50,0x44,0xcf,0x7e,0x00,0x02,0x00,0xff,0x03,0x00,0x07]
// W64-ERR: :[[@LINE-2]]:1: error: instruction requires wavesize=32

v_dual_lshlrev_b32 v255, vcc_lo, v2 :: v_dual_sub_f32 v7, exec_hi, v3
// GFX1250: v_dual_lshlrev_b32 v255, vcc_lo, v2 :: v_dual_sub_f32 v7, exec_hi, v3 ; encoding: [0x6a,0x50,0x44,0xcf,0x7f,0x00,0x02,0x00,0xff,0x03,0x00,0x07]
// W64-ERR: :[[@LINE-2]]:1: error: instruction requires wavesize=32

v_dual_lshlrev_b32 v255, src_scc, v2 :: v_dual_sub_f32 v7, -1, v3
// GFX1250: v_dual_lshlrev_b32 v255, src_scc, v2 :: v_dual_sub_f32 v7, -1, v3 ; encoding: [0xfd,0x50,0x44,0xcf,0xc1,0x00,0x02,0x00,0xff,0x03,0x00,0x07]
// W64-ERR: :[[@LINE-2]]:1: error: instruction requires wavesize=32

v_dual_lshlrev_b32 v255, 0.5, v3 :: v_dual_sub_f32 v7, 0.5, v2
// GFX1250: v_dual_lshlrev_b32 v255, 0.5, v3 :: v_dual_sub_f32 v7, 0.5, v2 ; encoding: [0xf0,0x50,0x44,0xcf,0xf0,0x00,0x03,0x00,0xff,0x02,0x00,0x07]
// W64-ERR: :[[@LINE-2]]:1: error: instruction requires wavesize=32

v_dual_lshlrev_b32 v255, -1, v4 :: v_dual_sub_f32 v7, src_scc, v5
// GFX1250: v_dual_lshlrev_b32 v255, -1, v4 :: v_dual_sub_f32 v7, src_scc, v5 ; encoding: [0xc1,0x50,0x44,0xcf,0xfd,0x00,0x04,0x00,0xff,0x05,0x00,0x07]
// W64-ERR: :[[@LINE-2]]:1: error: instruction requires wavesize=32

v_dual_lshlrev_b32 v255, v4, v2 :: v_dual_subrev_f32 v7, v1, v3
// GFX1250: v_dual_lshlrev_b32 v255, v4, v2 :: v_dual_subrev_f32 v7, v1, v3 ; encoding: [0x04,0x61,0x44,0xcf,0x01,0x01,0x02,0x00,0xff,0x03,0x00,0x07]
// W64-ERR: :[[@LINE-2]]:1: error: instruction requires wavesize=32

v_dual_lshlrev_b32 v255, v1, v2 :: v_dual_subrev_f32 v7, v255, v3
// GFX1250: v_dual_lshlrev_b32 v255, v1, v2 :: v_dual_subrev_f32 v7, v255, v3 ; encoding: [0x01,0x61,0x44,0xcf,0xff,0x01,0x02,0x00,0xff,0x03,0x00,0x07]
	;; [unrolled: 4-line block ×7, first 2 shown]
// W64-ERR: :[[@LINE-2]]:1: error: instruction requires wavesize=32

v_dual_lshlrev_b32 v255, ttmp15, v2 :: v_dual_subrev_f32 v7, vcc_lo, v3
// GFX1250: v_dual_lshlrev_b32 v255, ttmp15, v2 :: v_dual_subrev_f32 v7, vcc_lo, v3 ; encoding: [0x7b,0x60,0x44,0xcf,0x6a,0x00,0x02,0x00,0xff,0x03,0x00,0x07]
// W64-ERR: :[[@LINE-2]]:1: error: instruction requires wavesize=32

v_dual_lshlrev_b32 v255, exec_hi, v2 :: v_dual_subrev_f32 v7, vcc_hi, v3
// GFX1250: v_dual_lshlrev_b32 v255, exec_hi, v2 :: v_dual_subrev_f32 v7, vcc_hi, v3 ; encoding: [0x7f,0x60,0x44,0xcf,0x6b,0x00,0x02,0x00,0xff,0x03,0x00,0x07]
// W64-ERR: :[[@LINE-2]]:1: error: instruction requires wavesize=32

v_dual_lshlrev_b32 v255, exec_lo, v2 :: v_dual_subrev_f32 v7, ttmp15, v3
// GFX1250: v_dual_lshlrev_b32 v255, exec_lo, v2 :: v_dual_subrev_f32 v7, ttmp15, v3 ; encoding: [0x7e,0x60,0x44,0xcf,0x7b,0x00,0x02,0x00,0xff,0x03,0x00,0x07]
// W64-ERR: :[[@LINE-2]]:1: error: instruction requires wavesize=32

v_dual_lshlrev_b32 v255, m0, v2 :: v_dual_subrev_f32 v7, m0, v3
// GFX1250: v_dual_lshlrev_b32 v255, m0, v2 :: v_dual_subrev_f32 v7, m0, v3 ; encoding: [0x7d,0x60,0x44,0xcf,0x7d,0x00,0x02,0x00,0xff,0x03,0x00,0x07]
// W64-ERR: :[[@LINE-2]]:1: error: instruction requires wavesize=32

v_dual_lshlrev_b32 v255, vcc_hi, v2 :: v_dual_subrev_f32 v7, exec_lo, v3
// GFX1250: v_dual_lshlrev_b32 v255, vcc_hi, v2 :: v_dual_subrev_f32 v7, exec_lo, v3 ; encoding: [0x6b,0x60,0x44,0xcf,0x7e,0x00,0x02,0x00,0xff,0x03,0x00,0x07]
// W64-ERR: :[[@LINE-2]]:1: error: instruction requires wavesize=32

v_dual_lshlrev_b32 v255, vcc_lo, v2 :: v_dual_subrev_f32 v7, exec_hi, v3
// GFX1250: v_dual_lshlrev_b32 v255, vcc_lo, v2 :: v_dual_subrev_f32 v7, exec_hi, v3 ; encoding: [0x6a,0x60,0x44,0xcf,0x7f,0x00,0x02,0x00,0xff,0x03,0x00,0x07]
// W64-ERR: :[[@LINE-2]]:1: error: instruction requires wavesize=32

v_dual_lshlrev_b32 v255, src_scc, v2 :: v_dual_subrev_f32 v7, -1, v3
// GFX1250: v_dual_lshlrev_b32 v255, src_scc, v2 :: v_dual_subrev_f32 v7, -1, v3 ; encoding: [0xfd,0x60,0x44,0xcf,0xc1,0x00,0x02,0x00,0xff,0x03,0x00,0x07]
// W64-ERR: :[[@LINE-2]]:1: error: instruction requires wavesize=32

v_dual_lshlrev_b32 v255, 0.5, v3 :: v_dual_subrev_f32 v7, 0.5, v2
// GFX1250: v_dual_lshlrev_b32 v255, 0.5, v3 :: v_dual_subrev_f32 v7, 0.5, v2 ; encoding: [0xf0,0x60,0x44,0xcf,0xf0,0x00,0x03,0x00,0xff,0x02,0x00,0x07]
// W64-ERR: :[[@LINE-2]]:1: error: instruction requires wavesize=32

v_dual_lshlrev_b32 v255, -1, v4 :: v_dual_subrev_f32 v7, src_scc, v5
// GFX1250: v_dual_lshlrev_b32 v255, -1, v4 :: v_dual_subrev_f32 v7, src_scc, v5 ; encoding: [0xc1,0x60,0x44,0xcf,0xfd,0x00,0x04,0x00,0xff,0x05,0x00,0x07]
// W64-ERR: :[[@LINE-2]]:1: error: instruction requires wavesize=32

v_dual_lshlrev_b32 v254, v4, v2 :: v_dual_fma_f32 v7, v1, v3, v4
// GFX1250: v_dual_lshlrev_b32 v254, v4, v2 :: v_dual_fma_f32 v7, v1, v3, v4 ; encoding: [0x04,0x31,0x45,0xcf,0x01,0x01,0x02,0x00,0xfe,0x03,0x04,0x07]
// W64-ERR: :[[@LINE-2]]:1: error: instruction requires wavesize=32

v_dual_lshlrev_b32 v254, v4, v2 :: v_dual_sub_nc_u32 v9, v1, v13
// GFX1250: v_dual_lshlrev_b32 v254, v4, v2 :: v_dual_sub_nc_u32 v9, v1, v13 ; encoding: [0x04,0x41,0x45,0xcf,0x01,0x01,0x02,0x00,0xfe,0x0d,0x00,0x09]
// W64-ERR: :[[@LINE-2]]:1: error: instruction requires wavesize=32

v_dual_lshlrev_b32 v254, v4, v2 :: v_dual_lshrrev_b32 v9, v1, v13
// GFX1250: v_dual_lshlrev_b32 v254, v4, v2 :: v_dual_lshrrev_b32 v9, v1, v13 ; encoding: [0x04,0x51,0x45,0xcf,0x01,0x01,0x02,0x00,0xfe,0x0d,0x00,0x09]
// W64-ERR: :[[@LINE-2]]:1: error: instruction requires wavesize=32

v_dual_lshlrev_b32 v254, v4, v2 :: v_dual_ashrrev_i32 v9, v1, v13
// GFX1250: v_dual_lshlrev_b32 v254, v4, v2 :: v_dual_ashrrev_i32 v9, v1, v13 ; encoding: [0x04,0x61,0x45,0xcf,0x01,0x01,0x02,0x00,0xfe,0x0d,0x00,0x09]
// W64-ERR: :[[@LINE-2]]:1: error: instruction requires wavesize=32

v_dual_lshlrev_b32 v254, v4, v2 :: v_dual_bitop2_b32 v7, v1, v3 bitop3:0x85
// GFX1250: v_dual_lshlrev_b32 v254, v4, v2 :: v_dual_bitop2_b32 v7, v1, v3 bitop3:0x85 ; encoding: [0x04,0x21,0x45,0xcf,0x01,0x01,0x02,0x00,0xfe,0x03,0x85,0x07]
// W64-ERR: :[[@LINE-2]]:1: error: instruction requires wavesize=32

v_dual_sub_nc_u32 v254, v4, v2 :: v_dual_add_f32 v7, v1, v3
// GFX1250: v_dual_sub_nc_u32 v254, v4, v2 :: v_dual_add_f32 v7, v1, v3 ; encoding: [0x04,0x41,0x50,0xcf,0x01,0x01,0x02,0x00,0xfe,0x03,0x00,0x07]
// W64-ERR: :[[@LINE-2]]:1: error: instruction requires wavesize=32

v_dual_sub_nc_u32 v255, v1, v2 :: v_dual_add_f32 v7, v255, v3
// GFX1250: v_dual_sub_nc_u32 v255, v1, v2 :: v_dual_add_f32 v7, v255, v3 ; encoding: [0x01,0x41,0x50,0xcf,0xff,0x01,0x02,0x00,0xff,0x03,0x00,0x07]
	;; [unrolled: 4-line block ×7, first 2 shown]
// W64-ERR: :[[@LINE-2]]:1: error: instruction requires wavesize=32

v_dual_sub_nc_u32 v255, ttmp15, v2 :: v_dual_add_f32 v7, vcc_lo, v3
// GFX1250: v_dual_sub_nc_u32 v255, ttmp15, v2 :: v_dual_add_f32 v7, vcc_lo, v3 ; encoding: [0x7b,0x40,0x50,0xcf,0x6a,0x00,0x02,0x00,0xff,0x03,0x00,0x07]
// W64-ERR: :[[@LINE-2]]:1: error: instruction requires wavesize=32

v_dual_sub_nc_u32 v255, exec_hi, v2 :: v_dual_add_f32 v7, vcc_hi, v3
// GFX1250: v_dual_sub_nc_u32 v255, exec_hi, v2 :: v_dual_add_f32 v7, vcc_hi, v3 ; encoding: [0x7f,0x40,0x50,0xcf,0x6b,0x00,0x02,0x00,0xff,0x03,0x00,0x07]
// W64-ERR: :[[@LINE-2]]:1: error: instruction requires wavesize=32

v_dual_sub_nc_u32 v255, exec_lo, v2 :: v_dual_add_f32 v7, ttmp15, v3
// GFX1250: v_dual_sub_nc_u32 v255, exec_lo, v2 :: v_dual_add_f32 v7, ttmp15, v3 ; encoding: [0x7e,0x40,0x50,0xcf,0x7b,0x00,0x02,0x00,0xff,0x03,0x00,0x07]
// W64-ERR: :[[@LINE-2]]:1: error: instruction requires wavesize=32

v_dual_sub_nc_u32 v255, m0, v2 :: v_dual_add_f32 v7, m0, v3
// GFX1250: v_dual_sub_nc_u32 v255, m0, v2 :: v_dual_add_f32 v7, m0, v3 ; encoding: [0x7d,0x40,0x50,0xcf,0x7d,0x00,0x02,0x00,0xff,0x03,0x00,0x07]
// W64-ERR: :[[@LINE-2]]:1: error: instruction requires wavesize=32

v_dual_sub_nc_u32 v255, vcc_hi, v2 :: v_dual_add_f32 v7, exec_lo, v3
// GFX1250: v_dual_sub_nc_u32 v255, vcc_hi, v2 :: v_dual_add_f32 v7, exec_lo, v3 ; encoding: [0x6b,0x40,0x50,0xcf,0x7e,0x00,0x02,0x00,0xff,0x03,0x00,0x07]
// W64-ERR: :[[@LINE-2]]:1: error: instruction requires wavesize=32

v_dual_sub_nc_u32 v255, vcc_lo, v2 :: v_dual_add_f32 v7, exec_hi, v3
// GFX1250: v_dual_sub_nc_u32 v255, vcc_lo, v2 :: v_dual_add_f32 v7, exec_hi, v3 ; encoding: [0x6a,0x40,0x50,0xcf,0x7f,0x00,0x02,0x00,0xff,0x03,0x00,0x07]
// W64-ERR: :[[@LINE-2]]:1: error: instruction requires wavesize=32

v_dual_sub_nc_u32 v255, src_scc, v2 :: v_dual_add_f32 v7, -1, v3
// GFX1250: v_dual_sub_nc_u32 v255, src_scc, v2 :: v_dual_add_f32 v7, -1, v3 ; encoding: [0xfd,0x40,0x50,0xcf,0xc1,0x00,0x02,0x00,0xff,0x03,0x00,0x07]
// W64-ERR: :[[@LINE-2]]:1: error: instruction requires wavesize=32

v_dual_sub_nc_u32 v255, 0.5, v3 :: v_dual_add_f32 v7, 0.5, v2
// GFX1250: v_dual_sub_nc_u32 v255, 0.5, v3 :: v_dual_add_f32 v7, 0.5, v2 ; encoding: [0xf0,0x40,0x50,0xcf,0xf0,0x00,0x03,0x00,0xff,0x02,0x00,0x07]
// W64-ERR: :[[@LINE-2]]:1: error: instruction requires wavesize=32

v_dual_sub_nc_u32 v255, -1, v4 :: v_dual_add_f32 v7, src_scc, v5
// GFX1250: v_dual_sub_nc_u32 v255, -1, v4 :: v_dual_add_f32 v7, src_scc, v5 ; encoding: [0xc1,0x40,0x50,0xcf,0xfd,0x00,0x04,0x00,0xff,0x05,0x00,0x07]
// W64-ERR: :[[@LINE-2]]:1: error: instruction requires wavesize=32

v_dual_sub_nc_u32 v255, v4, v2 :: v_dual_add_nc_u32 v7, v1, v3
// GFX1250: v_dual_sub_nc_u32 v255, v4, v2 :: v_dual_add_nc_u32 v7, v1, v3 ; encoding: [0x04,0x01,0x51,0xcf,0x01,0x01,0x02,0x00,0xff,0x03,0x00,0x07]
// W64-ERR: :[[@LINE-2]]:1: error: instruction requires wavesize=32

v_dual_sub_nc_u32 v255, v1, v2 :: v_dual_add_nc_u32 v7, v255, v3
// GFX1250: v_dual_sub_nc_u32 v255, v1, v2 :: v_dual_add_nc_u32 v7, v255, v3 ; encoding: [0x01,0x01,0x51,0xcf,0xff,0x01,0x02,0x00,0xff,0x03,0x00,0x07]
	;; [unrolled: 4-line block ×7, first 2 shown]
// W64-ERR: :[[@LINE-2]]:1: error: instruction requires wavesize=32

v_dual_sub_nc_u32 v255, ttmp15, v2 :: v_dual_add_nc_u32 v7, vcc_lo, v3
// GFX1250: v_dual_sub_nc_u32 v255, ttmp15, v2 :: v_dual_add_nc_u32 v7, vcc_lo, v3 ; encoding: [0x7b,0x00,0x51,0xcf,0x6a,0x00,0x02,0x00,0xff,0x03,0x00,0x07]
// W64-ERR: :[[@LINE-2]]:1: error: instruction requires wavesize=32

v_dual_sub_nc_u32 v255, exec_hi, v2 :: v_dual_add_nc_u32 v7, vcc_hi, v3
// GFX1250: v_dual_sub_nc_u32 v255, exec_hi, v2 :: v_dual_add_nc_u32 v7, vcc_hi, v3 ; encoding: [0x7f,0x00,0x51,0xcf,0x6b,0x00,0x02,0x00,0xff,0x03,0x00,0x07]
// W64-ERR: :[[@LINE-2]]:1: error: instruction requires wavesize=32

v_dual_sub_nc_u32 v255, exec_lo, v2 :: v_dual_add_nc_u32 v7, ttmp15, v3
// GFX1250: v_dual_sub_nc_u32 v255, exec_lo, v2 :: v_dual_add_nc_u32 v7, ttmp15, v3 ; encoding: [0x7e,0x00,0x51,0xcf,0x7b,0x00,0x02,0x00,0xff,0x03,0x00,0x07]
// W64-ERR: :[[@LINE-2]]:1: error: instruction requires wavesize=32

v_dual_sub_nc_u32 v255, m0, v2 :: v_dual_add_nc_u32 v7, m0, v3
// GFX1250: v_dual_sub_nc_u32 v255, m0, v2 :: v_dual_add_nc_u32 v7, m0, v3 ; encoding: [0x7d,0x00,0x51,0xcf,0x7d,0x00,0x02,0x00,0xff,0x03,0x00,0x07]
// W64-ERR: :[[@LINE-2]]:1: error: instruction requires wavesize=32

v_dual_sub_nc_u32 v255, vcc_hi, v2 :: v_dual_add_nc_u32 v7, exec_lo, v3
// GFX1250: v_dual_sub_nc_u32 v255, vcc_hi, v2 :: v_dual_add_nc_u32 v7, exec_lo, v3 ; encoding: [0x6b,0x00,0x51,0xcf,0x7e,0x00,0x02,0x00,0xff,0x03,0x00,0x07]
// W64-ERR: :[[@LINE-2]]:1: error: instruction requires wavesize=32

v_dual_sub_nc_u32 v255, vcc_lo, v2 :: v_dual_add_nc_u32 v7, exec_hi, v3
// GFX1250: v_dual_sub_nc_u32 v255, vcc_lo, v2 :: v_dual_add_nc_u32 v7, exec_hi, v3 ; encoding: [0x6a,0x00,0x51,0xcf,0x7f,0x00,0x02,0x00,0xff,0x03,0x00,0x07]
// W64-ERR: :[[@LINE-2]]:1: error: instruction requires wavesize=32

v_dual_sub_nc_u32 v255, src_scc, v2 :: v_dual_add_nc_u32 v7, -1, v3
// GFX1250: v_dual_sub_nc_u32 v255, src_scc, v2 :: v_dual_add_nc_u32 v7, -1, v3 ; encoding: [0xfd,0x00,0x51,0xcf,0xc1,0x00,0x02,0x00,0xff,0x03,0x00,0x07]
// W64-ERR: :[[@LINE-2]]:1: error: instruction requires wavesize=32

v_dual_sub_nc_u32 v255, 0.5, v3 :: v_dual_add_nc_u32 v7, 0.5, v2
// GFX1250: v_dual_sub_nc_u32 v255, 0.5, v3 :: v_dual_add_nc_u32 v7, 0.5, v2 ; encoding: [0xf0,0x00,0x51,0xcf,0xf0,0x00,0x03,0x00,0xff,0x02,0x00,0x07]
// W64-ERR: :[[@LINE-2]]:1: error: instruction requires wavesize=32

v_dual_sub_nc_u32 v255, -1, v4 :: v_dual_add_nc_u32 v7, src_scc, v5
// GFX1250: v_dual_sub_nc_u32 v255, -1, v4 :: v_dual_add_nc_u32 v7, src_scc, v5 ; encoding: [0xc1,0x00,0x51,0xcf,0xfd,0x00,0x04,0x00,0xff,0x05,0x00,0x07]
// W64-ERR: :[[@LINE-2]]:1: error: instruction requires wavesize=32

v_dual_sub_nc_u32 v255, v4, v2 :: v_dual_cndmask_b32 v7, v1, v3, vcc_lo
// GFX1250: v_dual_sub_nc_u32 v255, v4, v2 :: v_dual_cndmask_b32 v7, v1, v3, vcc_lo ; encoding: [0x04,0x91,0x50,0xcf,0x01,0x01,0x02,0x00,0xff,0x03,0x6a,0x07]
// W64-ERR: :[[@LINE-2]]:1: error: instruction requires wavesize=32

v_dual_sub_nc_u32 v255, v1, v2 :: v_dual_cndmask_b32 v7, v255, v3, vcc_lo
// GFX1250: v_dual_sub_nc_u32 v255, v1, v2 :: v_dual_cndmask_b32 v7, v255, v3, vcc_lo ; encoding: [0x01,0x91,0x50,0xcf,0xff,0x01,0x02,0x00,0xff,0x03,0x6a,0x07]
	;; [unrolled: 4-line block ×7, first 2 shown]
// W64-ERR: :[[@LINE-2]]:1: error: instruction requires wavesize=32

v_dual_sub_nc_u32 v255, ttmp15, v2 :: v_dual_cndmask_b32 v7, ttmp15, v3, vcc_lo
// GFX1250: v_dual_sub_nc_u32 v255, ttmp15, v2 :: v_dual_cndmask_b32 v7, ttmp15, v3, vcc_lo ; encoding: [0x7b,0x90,0x50,0xcf,0x7b,0x00,0x02,0x00,0xff,0x03,0x6a,0x07]
// W64-ERR: :[[@LINE-2]]:1: error: instruction requires wavesize=32

v_dual_sub_nc_u32 v255, exec_hi, v2 :: v_dual_cndmask_b32 v7, exec_hi, v3, vcc_lo
// GFX1250: v_dual_sub_nc_u32 v255, exec_hi, v2 :: v_dual_cndmask_b32 v7, exec_hi, v3, vcc_lo ; encoding: [0x7f,0x90,0x50,0xcf,0x7f,0x00,0x02,0x00,0xff,0x03,0x6a,0x07]
// W64-ERR: :[[@LINE-2]]:1: error: instruction requires wavesize=32

v_dual_sub_nc_u32 v255, exec_lo, v2 :: v_dual_cndmask_b32 v7, exec_lo, v3, vcc_lo
// GFX1250: v_dual_sub_nc_u32 v255, exec_lo, v2 :: v_dual_cndmask_b32 v7, exec_lo, v3, vcc_lo ; encoding: [0x7e,0x90,0x50,0xcf,0x7e,0x00,0x02,0x00,0xff,0x03,0x6a,0x07]
// W64-ERR: :[[@LINE-2]]:1: error: instruction requires wavesize=32

v_dual_sub_nc_u32 v255, m0, v2 :: v_dual_cndmask_b32 v7, m0, v3, vcc_lo
// GFX1250: v_dual_sub_nc_u32 v255, m0, v2 :: v_dual_cndmask_b32 v7, m0, v3, vcc_lo ; encoding: [0x7d,0x90,0x50,0xcf,0x7d,0x00,0x02,0x00,0xff,0x03,0x6a,0x07]
// W64-ERR: :[[@LINE-2]]:1: error: instruction requires wavesize=32

v_dual_sub_nc_u32 v255, vcc_hi, v2 :: v_dual_cndmask_b32 v7, vcc_hi, v3, vcc_lo
// GFX1250: v_dual_sub_nc_u32 v255, vcc_hi, v2 :: v_dual_cndmask_b32 v7, vcc_hi, v3, vcc_lo ; encoding: [0x6b,0x90,0x50,0xcf,0x6b,0x00,0x02,0x00,0xff,0x03,0x6a,0x07]
// W64-ERR: :[[@LINE-2]]:1: error: instruction requires wavesize=32

v_dual_sub_nc_u32 v255, vcc_lo, v2 :: v_dual_cndmask_b32 v7, vcc_lo, v3, vcc_lo
// GFX1250: v_dual_sub_nc_u32 v255, vcc_lo, v2 :: v_dual_cndmask_b32 v7, vcc_lo, v3, vcc_lo ; encoding: [0x6a,0x90,0x50,0xcf,0x6a,0x00,0x02,0x00,0xff,0x03,0x6a,0x07]
// W64-ERR: :[[@LINE-2]]:1: error: instruction requires wavesize=32

v_dual_sub_nc_u32 v255, src_scc, v2 :: v_dual_cndmask_b32 v7, -1, v3, vcc_lo
// GFX1250: v_dual_sub_nc_u32 v255, src_scc, v2 :: v_dual_cndmask_b32 v7, -1, v3, vcc_lo ; encoding: [0xfd,0x90,0x50,0xcf,0xc1,0x00,0x02,0x00,0xff,0x03,0x6a,0x07]
// W64-ERR: :[[@LINE-2]]:1: error: instruction requires wavesize=32

v_dual_sub_nc_u32 v255, 0.5, v3 :: v_dual_cndmask_b32 v7, 0.5, v2, vcc_lo
// GFX1250: v_dual_sub_nc_u32 v255, 0.5, v3 :: v_dual_cndmask_b32 v7, 0.5, v2, vcc_lo ; encoding: [0xf0,0x90,0x50,0xcf,0xf0,0x00,0x03,0x00,0xff,0x02,0x6a,0x07]
// W64-ERR: :[[@LINE-2]]:1: error: instruction requires wavesize=32

v_dual_sub_nc_u32 v255, -1, v4 :: v_dual_cndmask_b32 v7, src_scc, v5, vcc_lo
// GFX1250: v_dual_sub_nc_u32 v255, -1, v4 :: v_dual_cndmask_b32 v7, src_scc, v5, vcc_lo ; encoding: [0xc1,0x90,0x50,0xcf,0xfd,0x00,0x04,0x00,0xff,0x05,0x6a,0x07]
// W64-ERR: :[[@LINE-2]]:1: error: instruction requires wavesize=32

v_dual_sub_nc_u32 v255, v4, v2 :: v_dual_fmac_f32 v7, v1, v3
// GFX1250: v_dual_sub_nc_u32 v255, v4, v2 :: v_dual_fmac_f32 v7, v1, v3 ; encoding: [0x04,0x01,0x50,0xcf,0x01,0x01,0x02,0x00,0xff,0x03,0x00,0x07]
// W64-ERR: :[[@LINE-2]]:1: error: instruction requires wavesize=32

v_dual_sub_nc_u32 v255, v1, v2 :: v_dual_fmac_f32 v7, v255, v3
// GFX1250: v_dual_sub_nc_u32 v255, v1, v2 :: v_dual_fmac_f32 v7, v255, v3 ; encoding: [0x01,0x01,0x50,0xcf,0xff,0x01,0x02,0x00,0xff,0x03,0x00,0x07]
	;; [unrolled: 4-line block ×7, first 2 shown]
// W64-ERR: :[[@LINE-2]]:1: error: instruction requires wavesize=32

v_dual_sub_nc_u32 v255, ttmp15, v2 :: v_dual_fmac_f32 v7, vcc_lo, v3
// GFX1250: v_dual_sub_nc_u32 v255, ttmp15, v2 :: v_dual_fmac_f32 v7, vcc_lo, v3 ; encoding: [0x7b,0x00,0x50,0xcf,0x6a,0x00,0x02,0x00,0xff,0x03,0x00,0x07]
// W64-ERR: :[[@LINE-2]]:1: error: instruction requires wavesize=32

v_dual_sub_nc_u32 v255, exec_hi, v2 :: v_dual_fmac_f32 v7, vcc_hi, v3
// GFX1250: v_dual_sub_nc_u32 v255, exec_hi, v2 :: v_dual_fmac_f32 v7, vcc_hi, v3 ; encoding: [0x7f,0x00,0x50,0xcf,0x6b,0x00,0x02,0x00,0xff,0x03,0x00,0x07]
// W64-ERR: :[[@LINE-2]]:1: error: instruction requires wavesize=32

v_dual_sub_nc_u32 v255, exec_lo, v2 :: v_dual_fmac_f32 v7, ttmp15, v3
// GFX1250: v_dual_sub_nc_u32 v255, exec_lo, v2 :: v_dual_fmac_f32 v7, ttmp15, v3 ; encoding: [0x7e,0x00,0x50,0xcf,0x7b,0x00,0x02,0x00,0xff,0x03,0x00,0x07]
// W64-ERR: :[[@LINE-2]]:1: error: instruction requires wavesize=32

v_dual_sub_nc_u32 v255, m0, v2 :: v_dual_fmac_f32 v7, m0, v3
// GFX1250: v_dual_sub_nc_u32 v255, m0, v2 :: v_dual_fmac_f32 v7, m0, v3 ; encoding: [0x7d,0x00,0x50,0xcf,0x7d,0x00,0x02,0x00,0xff,0x03,0x00,0x07]
// W64-ERR: :[[@LINE-2]]:1: error: instruction requires wavesize=32

v_dual_sub_nc_u32 v255, vcc_hi, v2 :: v_dual_fmac_f32 v7, exec_lo, v3
// GFX1250: v_dual_sub_nc_u32 v255, vcc_hi, v2 :: v_dual_fmac_f32 v7, exec_lo, v3 ; encoding: [0x6b,0x00,0x50,0xcf,0x7e,0x00,0x02,0x00,0xff,0x03,0x00,0x07]
// W64-ERR: :[[@LINE-2]]:1: error: instruction requires wavesize=32

v_dual_sub_nc_u32 v255, vcc_lo, v2 :: v_dual_fmac_f32 v7, exec_hi, v3
// GFX1250: v_dual_sub_nc_u32 v255, vcc_lo, v2 :: v_dual_fmac_f32 v7, exec_hi, v3 ; encoding: [0x6a,0x00,0x50,0xcf,0x7f,0x00,0x02,0x00,0xff,0x03,0x00,0x07]
// W64-ERR: :[[@LINE-2]]:1: error: instruction requires wavesize=32

v_dual_sub_nc_u32 v255, src_scc, v2 :: v_dual_fmac_f32 v7, -1, v3
// GFX1250: v_dual_sub_nc_u32 v255, src_scc, v2 :: v_dual_fmac_f32 v7, -1, v3 ; encoding: [0xfd,0x00,0x50,0xcf,0xc1,0x00,0x02,0x00,0xff,0x03,0x00,0x07]
// W64-ERR: :[[@LINE-2]]:1: error: instruction requires wavesize=32

v_dual_sub_nc_u32 v255, 0.5, v3 :: v_dual_fmac_f32 v7, 0.5, v2
// GFX1250: v_dual_sub_nc_u32 v255, 0.5, v3 :: v_dual_fmac_f32 v7, 0.5, v2 ; encoding: [0xf0,0x00,0x50,0xcf,0xf0,0x00,0x03,0x00,0xff,0x02,0x00,0x07]
// W64-ERR: :[[@LINE-2]]:1: error: instruction requires wavesize=32

v_dual_sub_nc_u32 v255, -1, v4 :: v_dual_fmac_f32 v7, src_scc, v5
// GFX1250: v_dual_sub_nc_u32 v255, -1, v4 :: v_dual_fmac_f32 v7, src_scc, v5 ; encoding: [0xc1,0x00,0x50,0xcf,0xfd,0x00,0x04,0x00,0xff,0x05,0x00,0x07]
// W64-ERR: :[[@LINE-2]]:1: error: instruction requires wavesize=32

v_dual_sub_nc_u32 v255, v4, v2 :: v_dual_lshlrev_b32 v7, v1, v3
// GFX1250: v_dual_sub_nc_u32 v255, v4, v2 :: v_dual_lshlrev_b32 v7, v1, v3 ; encoding: [0x04,0x11,0x51,0xcf,0x01,0x01,0x02,0x00,0xff,0x03,0x00,0x07]
// W64-ERR: :[[@LINE-2]]:1: error: instruction requires wavesize=32

v_dual_sub_nc_u32 v255, v1, v2 :: v_dual_lshlrev_b32 v7, v255, v3
// GFX1250: v_dual_sub_nc_u32 v255, v1, v2 :: v_dual_lshlrev_b32 v7, v255, v3 ; encoding: [0x01,0x11,0x51,0xcf,0xff,0x01,0x02,0x00,0xff,0x03,0x00,0x07]
// W64-ERR: :[[@LINE-2]]:1: error: instruction requires wavesize=32

v_dual_sub_nc_u32 v255, v255, v2 :: v_dual_lshlrev_b32 v7, v2, v3
// GFX1250: v_dual_sub_nc_u32 v255, v255, v2 :: v_dual_lshlrev_b32 v7, v2, v3 ; encoding: [0xff,0x11,0x51,0xcf,0x02,0x01,0x02,0x00,0xff,0x03,0x00,0x07]
// W64-ERR: :[[@LINE-2]]:1: error: instruction requires wavesize=32

v_dual_sub_nc_u32 v255, v2, v2 :: v_dual_lshlrev_b32 v7, v3, v3
// GFX1250: v_dual_sub_nc_u32 v255, v2, v2 :: v_dual_lshlrev_b32 v7, v3, v3 ; encoding: [0x02,0x11,0x51,0xcf,0x03,0x01,0x02,0x00,0xff,0x03,0x00,0x07]
// W64-ERR: :[[@LINE-2]]:1: error: instruction requires wavesize=32

v_dual_sub_nc_u32 v255, v3, v2 :: v_dual_lshlrev_b32 v7, v4, v3
// GFX1250: v_dual_sub_nc_u32 v255, v3, v2 :: v_dual_lshlrev_b32 v7, v4, v3 ; encoding: [0x03,0x11,0x51,0xcf,0x04,0x01,0x02,0x00,0xff,0x03,0x00,0x07]
// W64-ERR: :[[@LINE-2]]:1: error: instruction requires wavesize=32

v_dual_sub_nc_u32 v255, s105, v2 :: v_dual_lshlrev_b32 v7, s1, v3
// GFX1250: v_dual_sub_nc_u32 v255, s105, v2 :: v_dual_lshlrev_b32 v7, s1, v3 ; encoding: [0x69,0x10,0x51,0xcf,0x01,0x00,0x02,0x00,0xff,0x03,0x00,0x07]
// W64-ERR: :[[@LINE-2]]:1: error: instruction requires wavesize=32

v_dual_sub_nc_u32 v255, s1, v2 :: v_dual_lshlrev_b32 v7, s105, v3
// GFX1250: v_dual_sub_nc_u32 v255, s1, v2 :: v_dual_lshlrev_b32 v7, s105, v3 ; encoding: [0x01,0x10,0x51,0xcf,0x69,0x00,0x02,0x00,0xff,0x03,0x00,0x07]
// W64-ERR: :[[@LINE-2]]:1: error: instruction requires wavesize=32

v_dual_sub_nc_u32 v255, ttmp15, v2 :: v_dual_lshlrev_b32 v7, vcc_lo, v3
// GFX1250: v_dual_sub_nc_u32 v255, ttmp15, v2 :: v_dual_lshlrev_b32 v7, vcc_lo, v3 ; encoding: [0x7b,0x10,0x51,0xcf,0x6a,0x00,0x02,0x00,0xff,0x03,0x00,0x07]
// W64-ERR: :[[@LINE-2]]:1: error: instruction requires wavesize=32

v_dual_sub_nc_u32 v255, exec_hi, v2 :: v_dual_lshlrev_b32 v7, vcc_hi, v3
// GFX1250: v_dual_sub_nc_u32 v255, exec_hi, v2 :: v_dual_lshlrev_b32 v7, vcc_hi, v3 ; encoding: [0x7f,0x10,0x51,0xcf,0x6b,0x00,0x02,0x00,0xff,0x03,0x00,0x07]
// W64-ERR: :[[@LINE-2]]:1: error: instruction requires wavesize=32

v_dual_sub_nc_u32 v255, exec_lo, v2 :: v_dual_lshlrev_b32 v7, ttmp15, v3
// GFX1250: v_dual_sub_nc_u32 v255, exec_lo, v2 :: v_dual_lshlrev_b32 v7, ttmp15, v3 ; encoding: [0x7e,0x10,0x51,0xcf,0x7b,0x00,0x02,0x00,0xff,0x03,0x00,0x07]
// W64-ERR: :[[@LINE-2]]:1: error: instruction requires wavesize=32

v_dual_sub_nc_u32 v255, m0, v2 :: v_dual_lshlrev_b32 v7, m0, v3
// GFX1250: v_dual_sub_nc_u32 v255, m0, v2 :: v_dual_lshlrev_b32 v7, m0, v3 ; encoding: [0x7d,0x10,0x51,0xcf,0x7d,0x00,0x02,0x00,0xff,0x03,0x00,0x07]
// W64-ERR: :[[@LINE-2]]:1: error: instruction requires wavesize=32

v_dual_sub_nc_u32 v255, vcc_hi, v2 :: v_dual_lshlrev_b32 v7, exec_lo, v3
// GFX1250: v_dual_sub_nc_u32 v255, vcc_hi, v2 :: v_dual_lshlrev_b32 v7, exec_lo, v3 ; encoding: [0x6b,0x10,0x51,0xcf,0x7e,0x00,0x02,0x00,0xff,0x03,0x00,0x07]
// W64-ERR: :[[@LINE-2]]:1: error: instruction requires wavesize=32

v_dual_sub_nc_u32 v255, vcc_lo, v2 :: v_dual_lshlrev_b32 v7, exec_hi, v3
// GFX1250: v_dual_sub_nc_u32 v255, vcc_lo, v2 :: v_dual_lshlrev_b32 v7, exec_hi, v3 ; encoding: [0x6a,0x10,0x51,0xcf,0x7f,0x00,0x02,0x00,0xff,0x03,0x00,0x07]
// W64-ERR: :[[@LINE-2]]:1: error: instruction requires wavesize=32

v_dual_sub_nc_u32 v255, src_scc, v2 :: v_dual_lshlrev_b32 v7, -1, v3
// GFX1250: v_dual_sub_nc_u32 v255, src_scc, v2 :: v_dual_lshlrev_b32 v7, -1, v3 ; encoding: [0xfd,0x10,0x51,0xcf,0xc1,0x00,0x02,0x00,0xff,0x03,0x00,0x07]
// W64-ERR: :[[@LINE-2]]:1: error: instruction requires wavesize=32

v_dual_sub_nc_u32 v255, 0.5, v3 :: v_dual_lshlrev_b32 v7, 0.5, v2
// GFX1250: v_dual_sub_nc_u32 v255, 0.5, v3 :: v_dual_lshlrev_b32 v7, 0.5, v2 ; encoding: [0xf0,0x10,0x51,0xcf,0xf0,0x00,0x03,0x00,0xff,0x02,0x00,0x07]
// W64-ERR: :[[@LINE-2]]:1: error: instruction requires wavesize=32

v_dual_sub_nc_u32 v255, -1, v4 :: v_dual_lshlrev_b32 v7, src_scc, v5
// GFX1250: v_dual_sub_nc_u32 v255, -1, v4 :: v_dual_lshlrev_b32 v7, src_scc, v5 ; encoding: [0xc1,0x10,0x51,0xcf,0xfd,0x00,0x04,0x00,0xff,0x05,0x00,0x07]
// W64-ERR: :[[@LINE-2]]:1: error: instruction requires wavesize=32

v_dual_sub_nc_u32 v255, v4, v2 :: v_dual_max_num_f32 v7, v1, v3
// GFX1250: v_dual_sub_nc_u32 v255, v4, v2 :: v_dual_max_num_f32 v7, v1, v3 ; encoding: [0x04,0xa1,0x50,0xcf,0x01,0x01,0x02,0x00,0xff,0x03,0x00,0x07]
// W64-ERR: :[[@LINE-2]]:1: error: instruction requires wavesize=32

v_dual_sub_nc_u32 v255, v1, v2 :: v_dual_max_num_f32 v7, v255, v3
// GFX1250: v_dual_sub_nc_u32 v255, v1, v2 :: v_dual_max_num_f32 v7, v255, v3 ; encoding: [0x01,0xa1,0x50,0xcf,0xff,0x01,0x02,0x00,0xff,0x03,0x00,0x07]
	;; [unrolled: 4-line block ×7, first 2 shown]
// W64-ERR: :[[@LINE-2]]:1: error: instruction requires wavesize=32

v_dual_sub_nc_u32 v255, ttmp15, v2 :: v_dual_max_num_f32 v7, vcc_lo, v3
// GFX1250: v_dual_sub_nc_u32 v255, ttmp15, v2 :: v_dual_max_num_f32 v7, vcc_lo, v3 ; encoding: [0x7b,0xa0,0x50,0xcf,0x6a,0x00,0x02,0x00,0xff,0x03,0x00,0x07]
// W64-ERR: :[[@LINE-2]]:1: error: instruction requires wavesize=32

v_dual_sub_nc_u32 v255, exec_hi, v2 :: v_dual_max_num_f32 v7, vcc_hi, v3
// GFX1250: v_dual_sub_nc_u32 v255, exec_hi, v2 :: v_dual_max_num_f32 v7, vcc_hi, v3 ; encoding: [0x7f,0xa0,0x50,0xcf,0x6b,0x00,0x02,0x00,0xff,0x03,0x00,0x07]
// W64-ERR: :[[@LINE-2]]:1: error: instruction requires wavesize=32

v_dual_sub_nc_u32 v255, exec_lo, v2 :: v_dual_max_num_f32 v7, ttmp15, v3
// GFX1250: v_dual_sub_nc_u32 v255, exec_lo, v2 :: v_dual_max_num_f32 v7, ttmp15, v3 ; encoding: [0x7e,0xa0,0x50,0xcf,0x7b,0x00,0x02,0x00,0xff,0x03,0x00,0x07]
// W64-ERR: :[[@LINE-2]]:1: error: instruction requires wavesize=32

v_dual_sub_nc_u32 v255, m0, v2 :: v_dual_max_num_f32 v7, m0, v3
// GFX1250: v_dual_sub_nc_u32 v255, m0, v2 :: v_dual_max_num_f32 v7, m0, v3 ; encoding: [0x7d,0xa0,0x50,0xcf,0x7d,0x00,0x02,0x00,0xff,0x03,0x00,0x07]
// W64-ERR: :[[@LINE-2]]:1: error: instruction requires wavesize=32

v_dual_sub_nc_u32 v255, vcc_hi, v2 :: v_dual_max_num_f32 v7, exec_lo, v3
// GFX1250: v_dual_sub_nc_u32 v255, vcc_hi, v2 :: v_dual_max_num_f32 v7, exec_lo, v3 ; encoding: [0x6b,0xa0,0x50,0xcf,0x7e,0x00,0x02,0x00,0xff,0x03,0x00,0x07]
// W64-ERR: :[[@LINE-2]]:1: error: instruction requires wavesize=32

v_dual_sub_nc_u32 v255, vcc_lo, v2 :: v_dual_max_num_f32 v7, exec_hi, v3
// GFX1250: v_dual_sub_nc_u32 v255, vcc_lo, v2 :: v_dual_max_num_f32 v7, exec_hi, v3 ; encoding: [0x6a,0xa0,0x50,0xcf,0x7f,0x00,0x02,0x00,0xff,0x03,0x00,0x07]
// W64-ERR: :[[@LINE-2]]:1: error: instruction requires wavesize=32

v_dual_sub_nc_u32 v255, src_scc, v2 :: v_dual_max_num_f32 v7, -1, v3
// GFX1250: v_dual_sub_nc_u32 v255, src_scc, v2 :: v_dual_max_num_f32 v7, -1, v3 ; encoding: [0xfd,0xa0,0x50,0xcf,0xc1,0x00,0x02,0x00,0xff,0x03,0x00,0x07]
// W64-ERR: :[[@LINE-2]]:1: error: instruction requires wavesize=32

v_dual_sub_nc_u32 v255, 0.5, v3 :: v_dual_max_num_f32 v7, 0.5, v2
// GFX1250: v_dual_sub_nc_u32 v255, 0.5, v3 :: v_dual_max_num_f32 v7, 0.5, v2 ; encoding: [0xf0,0xa0,0x50,0xcf,0xf0,0x00,0x03,0x00,0xff,0x02,0x00,0x07]
// W64-ERR: :[[@LINE-2]]:1: error: instruction requires wavesize=32

v_dual_sub_nc_u32 v255, -1, v4 :: v_dual_max_num_f32 v7, src_scc, v5
// GFX1250: v_dual_sub_nc_u32 v255, -1, v4 :: v_dual_max_num_f32 v7, src_scc, v5 ; encoding: [0xc1,0xa0,0x50,0xcf,0xfd,0x00,0x04,0x00,0xff,0x05,0x00,0x07]
// W64-ERR: :[[@LINE-2]]:1: error: instruction requires wavesize=32

v_dual_sub_nc_u32 v255, v4, v2 :: v_dual_min_num_f32 v7, v1, v3
// GFX1250: v_dual_sub_nc_u32 v255, v4, v2 :: v_dual_min_num_f32 v7, v1, v3 ; encoding: [0x04,0xb1,0x50,0xcf,0x01,0x01,0x02,0x00,0xff,0x03,0x00,0x07]
// W64-ERR: :[[@LINE-2]]:1: error: instruction requires wavesize=32

v_dual_sub_nc_u32 v255, v1, v2 :: v_dual_min_num_f32 v7, v255, v3
// GFX1250: v_dual_sub_nc_u32 v255, v1, v2 :: v_dual_min_num_f32 v7, v255, v3 ; encoding: [0x01,0xb1,0x50,0xcf,0xff,0x01,0x02,0x00,0xff,0x03,0x00,0x07]
	;; [unrolled: 4-line block ×7, first 2 shown]
// W64-ERR: :[[@LINE-2]]:1: error: instruction requires wavesize=32

v_dual_sub_nc_u32 v255, ttmp15, v2 :: v_dual_min_num_f32 v7, vcc_lo, v3
// GFX1250: v_dual_sub_nc_u32 v255, ttmp15, v2 :: v_dual_min_num_f32 v7, vcc_lo, v3 ; encoding: [0x7b,0xb0,0x50,0xcf,0x6a,0x00,0x02,0x00,0xff,0x03,0x00,0x07]
// W64-ERR: :[[@LINE-2]]:1: error: instruction requires wavesize=32

v_dual_sub_nc_u32 v255, exec_hi, v2 :: v_dual_min_num_f32 v7, vcc_hi, v3
// GFX1250: v_dual_sub_nc_u32 v255, exec_hi, v2 :: v_dual_min_num_f32 v7, vcc_hi, v3 ; encoding: [0x7f,0xb0,0x50,0xcf,0x6b,0x00,0x02,0x00,0xff,0x03,0x00,0x07]
// W64-ERR: :[[@LINE-2]]:1: error: instruction requires wavesize=32

v_dual_sub_nc_u32 v255, exec_lo, v2 :: v_dual_min_num_f32 v7, ttmp15, v3
// GFX1250: v_dual_sub_nc_u32 v255, exec_lo, v2 :: v_dual_min_num_f32 v7, ttmp15, v3 ; encoding: [0x7e,0xb0,0x50,0xcf,0x7b,0x00,0x02,0x00,0xff,0x03,0x00,0x07]
// W64-ERR: :[[@LINE-2]]:1: error: instruction requires wavesize=32

v_dual_sub_nc_u32 v255, m0, v2 :: v_dual_min_num_f32 v7, m0, v3
// GFX1250: v_dual_sub_nc_u32 v255, m0, v2 :: v_dual_min_num_f32 v7, m0, v3 ; encoding: [0x7d,0xb0,0x50,0xcf,0x7d,0x00,0x02,0x00,0xff,0x03,0x00,0x07]
// W64-ERR: :[[@LINE-2]]:1: error: instruction requires wavesize=32

v_dual_sub_nc_u32 v255, vcc_hi, v2 :: v_dual_min_num_f32 v7, exec_lo, v3
// GFX1250: v_dual_sub_nc_u32 v255, vcc_hi, v2 :: v_dual_min_num_f32 v7, exec_lo, v3 ; encoding: [0x6b,0xb0,0x50,0xcf,0x7e,0x00,0x02,0x00,0xff,0x03,0x00,0x07]
// W64-ERR: :[[@LINE-2]]:1: error: instruction requires wavesize=32

v_dual_sub_nc_u32 v255, vcc_lo, v2 :: v_dual_min_num_f32 v7, exec_hi, v3
// GFX1250: v_dual_sub_nc_u32 v255, vcc_lo, v2 :: v_dual_min_num_f32 v7, exec_hi, v3 ; encoding: [0x6a,0xb0,0x50,0xcf,0x7f,0x00,0x02,0x00,0xff,0x03,0x00,0x07]
// W64-ERR: :[[@LINE-2]]:1: error: instruction requires wavesize=32

v_dual_sub_nc_u32 v255, src_scc, v2 :: v_dual_min_num_f32 v7, -1, v3
// GFX1250: v_dual_sub_nc_u32 v255, src_scc, v2 :: v_dual_min_num_f32 v7, -1, v3 ; encoding: [0xfd,0xb0,0x50,0xcf,0xc1,0x00,0x02,0x00,0xff,0x03,0x00,0x07]
// W64-ERR: :[[@LINE-2]]:1: error: instruction requires wavesize=32

v_dual_sub_nc_u32 v255, 0.5, v3 :: v_dual_min_num_f32 v7, 0.5, v2
// GFX1250: v_dual_sub_nc_u32 v255, 0.5, v3 :: v_dual_min_num_f32 v7, 0.5, v2 ; encoding: [0xf0,0xb0,0x50,0xcf,0xf0,0x00,0x03,0x00,0xff,0x02,0x00,0x07]
// W64-ERR: :[[@LINE-2]]:1: error: instruction requires wavesize=32

v_dual_sub_nc_u32 v255, -1, v4 :: v_dual_min_num_f32 v7, src_scc, v5
// GFX1250: v_dual_sub_nc_u32 v255, -1, v4 :: v_dual_min_num_f32 v7, src_scc, v5 ; encoding: [0xc1,0xb0,0x50,0xcf,0xfd,0x00,0x04,0x00,0xff,0x05,0x00,0x07]
// W64-ERR: :[[@LINE-2]]:1: error: instruction requires wavesize=32

v_dual_sub_nc_u32 v255, v4, v255 :: v_dual_mov_b32 v7, v1
// GFX1250: v_dual_sub_nc_u32 v255, v4, v255 :: v_dual_mov_b32 v7, v1 ; encoding: [0x04,0x81,0x50,0xcf,0x01,0x01,0xff,0x00,0xff,0x00,0x00,0x07]
// W64-ERR: :[[@LINE-2]]:1: error: instruction requires wavesize=32

v_dual_sub_nc_u32 v255, v1, v255 :: v_dual_mov_b32 v7, v255
// GFX1250: v_dual_sub_nc_u32 v255, v1, v255 :: v_dual_mov_b32 v7, v255 ; encoding: [0x01,0x81,0x50,0xcf,0xff,0x01,0xff,0x00,0xff,0x00,0x00,0x07]
	;; [unrolled: 4-line block ×7, first 2 shown]
// W64-ERR: :[[@LINE-2]]:1: error: instruction requires wavesize=32

v_dual_sub_nc_u32 v255, ttmp15, v255 :: v_dual_mov_b32 v7, vcc_lo
// GFX1250: v_dual_sub_nc_u32 v255, ttmp15, v255 :: v_dual_mov_b32 v7, vcc_lo ; encoding: [0x7b,0x80,0x50,0xcf,0x6a,0x00,0xff,0x00,0xff,0x00,0x00,0x07]
// W64-ERR: :[[@LINE-2]]:1: error: instruction requires wavesize=32

v_dual_sub_nc_u32 v255, exec_hi, v255 :: v_dual_mov_b32 v7, vcc_hi
// GFX1250: v_dual_sub_nc_u32 v255, exec_hi, v255 :: v_dual_mov_b32 v7, vcc_hi ; encoding: [0x7f,0x80,0x50,0xcf,0x6b,0x00,0xff,0x00,0xff,0x00,0x00,0x07]
// W64-ERR: :[[@LINE-2]]:1: error: instruction requires wavesize=32

v_dual_sub_nc_u32 v255, exec_lo, v255 :: v_dual_mov_b32 v7, ttmp15
// GFX1250: v_dual_sub_nc_u32 v255, exec_lo, v255 :: v_dual_mov_b32 v7, ttmp15 ; encoding: [0x7e,0x80,0x50,0xcf,0x7b,0x00,0xff,0x00,0xff,0x00,0x00,0x07]
// W64-ERR: :[[@LINE-2]]:1: error: instruction requires wavesize=32

v_dual_sub_nc_u32 v255, m0, v255 :: v_dual_mov_b32 v7, m0
// GFX1250: v_dual_sub_nc_u32 v255, m0, v255 :: v_dual_mov_b32 v7, m0 ; encoding: [0x7d,0x80,0x50,0xcf,0x7d,0x00,0xff,0x00,0xff,0x00,0x00,0x07]
// W64-ERR: :[[@LINE-2]]:1: error: instruction requires wavesize=32

v_dual_sub_nc_u32 v255, vcc_hi, v255 :: v_dual_mov_b32 v7, exec_lo
// GFX1250: v_dual_sub_nc_u32 v255, vcc_hi, v255 :: v_dual_mov_b32 v7, exec_lo ; encoding: [0x6b,0x80,0x50,0xcf,0x7e,0x00,0xff,0x00,0xff,0x00,0x00,0x07]
// W64-ERR: :[[@LINE-2]]:1: error: instruction requires wavesize=32

v_dual_sub_nc_u32 v255, vcc_lo, v255 :: v_dual_mov_b32 v7, exec_hi
// GFX1250: v_dual_sub_nc_u32 v255, vcc_lo, v255 :: v_dual_mov_b32 v7, exec_hi ; encoding: [0x6a,0x80,0x50,0xcf,0x7f,0x00,0xff,0x00,0xff,0x00,0x00,0x07]
// W64-ERR: :[[@LINE-2]]:1: error: instruction requires wavesize=32

v_dual_sub_nc_u32 v255, src_scc, v255 :: v_dual_mov_b32 v7, -1
// GFX1250: v_dual_sub_nc_u32 v255, src_scc, v255 :: v_dual_mov_b32 v7, -1 ; encoding: [0xfd,0x80,0x50,0xcf,0xc1,0x00,0xff,0x00,0xff,0x00,0x00,0x07]
// W64-ERR: :[[@LINE-2]]:1: error: instruction requires wavesize=32

v_dual_sub_nc_u32 v255, 0.5, v3 :: v_dual_mov_b32 v7, 0.5
// GFX1250: v_dual_sub_nc_u32 v255, 0.5, v3 :: v_dual_mov_b32 v7, 0.5 ; encoding: [0xf0,0x80,0x50,0xcf,0xf0,0x00,0x03,0x00,0xff,0x00,0x00,0x07]
// W64-ERR: :[[@LINE-2]]:1: error: instruction requires wavesize=32

v_dual_sub_nc_u32 v255, -1, v4 :: v_dual_mov_b32 v7, src_scc
// GFX1250: v_dual_sub_nc_u32 v255, -1, v4 :: v_dual_mov_b32 v7, src_scc ; encoding: [0xc1,0x80,0x50,0xcf,0xfd,0x00,0x04,0x00,0xff,0x00,0x00,0x07]
// W64-ERR: :[[@LINE-2]]:1: error: instruction requires wavesize=32

v_dual_sub_nc_u32 v255, v4, v2 :: v_dual_mul_dx9_zero_f32 v7, v1, v3
// GFX1250: v_dual_sub_nc_u32 v255, v4, v2 :: v_dual_mul_dx9_zero_f32 v7, v1, v3 ; encoding: [0x04,0x71,0x50,0xcf,0x01,0x01,0x02,0x00,0xff,0x03,0x00,0x07]
// W64-ERR: :[[@LINE-2]]:1: error: instruction requires wavesize=32

v_dual_sub_nc_u32 v255, v1, v2 :: v_dual_mul_dx9_zero_f32 v7, v255, v3
// GFX1250: v_dual_sub_nc_u32 v255, v1, v2 :: v_dual_mul_dx9_zero_f32 v7, v255, v3 ; encoding: [0x01,0x71,0x50,0xcf,0xff,0x01,0x02,0x00,0xff,0x03,0x00,0x07]
	;; [unrolled: 4-line block ×7, first 2 shown]
// W64-ERR: :[[@LINE-2]]:1: error: instruction requires wavesize=32

v_dual_sub_nc_u32 v255, ttmp15, v2 :: v_dual_mul_dx9_zero_f32 v7, vcc_lo, v3
// GFX1250: v_dual_sub_nc_u32 v255, ttmp15, v2 :: v_dual_mul_dx9_zero_f32 v7, vcc_lo, v3 ; encoding: [0x7b,0x70,0x50,0xcf,0x6a,0x00,0x02,0x00,0xff,0x03,0x00,0x07]
// W64-ERR: :[[@LINE-2]]:1: error: instruction requires wavesize=32

v_dual_sub_nc_u32 v255, exec_hi, v2 :: v_dual_mul_dx9_zero_f32 v7, vcc_hi, v3
// GFX1250: v_dual_sub_nc_u32 v255, exec_hi, v2 :: v_dual_mul_dx9_zero_f32 v7, vcc_hi, v3 ; encoding: [0x7f,0x70,0x50,0xcf,0x6b,0x00,0x02,0x00,0xff,0x03,0x00,0x07]
// W64-ERR: :[[@LINE-2]]:1: error: instruction requires wavesize=32

v_dual_sub_nc_u32 v255, exec_lo, v2 :: v_dual_mul_dx9_zero_f32 v7, ttmp15, v3
// GFX1250: v_dual_sub_nc_u32 v255, exec_lo, v2 :: v_dual_mul_dx9_zero_f32 v7, ttmp15, v3 ; encoding: [0x7e,0x70,0x50,0xcf,0x7b,0x00,0x02,0x00,0xff,0x03,0x00,0x07]
// W64-ERR: :[[@LINE-2]]:1: error: instruction requires wavesize=32

v_dual_sub_nc_u32 v255, m0, v2 :: v_dual_mul_dx9_zero_f32 v7, m0, v3
// GFX1250: v_dual_sub_nc_u32 v255, m0, v2 :: v_dual_mul_dx9_zero_f32 v7, m0, v3 ; encoding: [0x7d,0x70,0x50,0xcf,0x7d,0x00,0x02,0x00,0xff,0x03,0x00,0x07]
// W64-ERR: :[[@LINE-2]]:1: error: instruction requires wavesize=32

v_dual_sub_nc_u32 v255, vcc_hi, v2 :: v_dual_mul_dx9_zero_f32 v7, exec_lo, v3
// GFX1250: v_dual_sub_nc_u32 v255, vcc_hi, v2 :: v_dual_mul_dx9_zero_f32 v7, exec_lo, v3 ; encoding: [0x6b,0x70,0x50,0xcf,0x7e,0x00,0x02,0x00,0xff,0x03,0x00,0x07]
// W64-ERR: :[[@LINE-2]]:1: error: instruction requires wavesize=32

v_dual_sub_nc_u32 v255, vcc_lo, v2 :: v_dual_mul_dx9_zero_f32 v7, exec_hi, v3
// GFX1250: v_dual_sub_nc_u32 v255, vcc_lo, v2 :: v_dual_mul_dx9_zero_f32 v7, exec_hi, v3 ; encoding: [0x6a,0x70,0x50,0xcf,0x7f,0x00,0x02,0x00,0xff,0x03,0x00,0x07]
// W64-ERR: :[[@LINE-2]]:1: error: instruction requires wavesize=32

v_dual_sub_nc_u32 v255, src_scc, v2 :: v_dual_mul_dx9_zero_f32 v7, -1, v3
// GFX1250: v_dual_sub_nc_u32 v255, src_scc, v2 :: v_dual_mul_dx9_zero_f32 v7, -1, v3 ; encoding: [0xfd,0x70,0x50,0xcf,0xc1,0x00,0x02,0x00,0xff,0x03,0x00,0x07]
// W64-ERR: :[[@LINE-2]]:1: error: instruction requires wavesize=32

v_dual_sub_nc_u32 v255, 0.5, v3 :: v_dual_mul_dx9_zero_f32 v7, 0.5, v2
// GFX1250: v_dual_sub_nc_u32 v255, 0.5, v3 :: v_dual_mul_dx9_zero_f32 v7, 0.5, v2 ; encoding: [0xf0,0x70,0x50,0xcf,0xf0,0x00,0x03,0x00,0xff,0x02,0x00,0x07]
// W64-ERR: :[[@LINE-2]]:1: error: instruction requires wavesize=32

v_dual_sub_nc_u32 v255, -1, v4 :: v_dual_mul_dx9_zero_f32 v7, src_scc, v5
// GFX1250: v_dual_sub_nc_u32 v255, -1, v4 :: v_dual_mul_dx9_zero_f32 v7, src_scc, v5 ; encoding: [0xc1,0x70,0x50,0xcf,0xfd,0x00,0x04,0x00,0xff,0x05,0x00,0x07]
// W64-ERR: :[[@LINE-2]]:1: error: instruction requires wavesize=32

v_dual_sub_nc_u32 v255, v4, v2 :: v_dual_mul_f32 v7, v1, v3
// GFX1250: v_dual_sub_nc_u32 v255, v4, v2 :: v_dual_mul_f32 v7, v1, v3 ; encoding: [0x04,0x31,0x50,0xcf,0x01,0x01,0x02,0x00,0xff,0x03,0x00,0x07]
// W64-ERR: :[[@LINE-2]]:1: error: instruction requires wavesize=32

v_dual_sub_nc_u32 v255, v1, v2 :: v_dual_mul_f32 v7, v255, v3
// GFX1250: v_dual_sub_nc_u32 v255, v1, v2 :: v_dual_mul_f32 v7, v255, v3 ; encoding: [0x01,0x31,0x50,0xcf,0xff,0x01,0x02,0x00,0xff,0x03,0x00,0x07]
	;; [unrolled: 4-line block ×7, first 2 shown]
// W64-ERR: :[[@LINE-2]]:1: error: instruction requires wavesize=32

v_dual_sub_nc_u32 v255, ttmp15, v2 :: v_dual_mul_f32 v7, vcc_lo, v3
// GFX1250: v_dual_sub_nc_u32 v255, ttmp15, v2 :: v_dual_mul_f32 v7, vcc_lo, v3 ; encoding: [0x7b,0x30,0x50,0xcf,0x6a,0x00,0x02,0x00,0xff,0x03,0x00,0x07]
// W64-ERR: :[[@LINE-2]]:1: error: instruction requires wavesize=32

v_dual_sub_nc_u32 v255, exec_hi, v2 :: v_dual_mul_f32 v7, vcc_hi, v3
// GFX1250: v_dual_sub_nc_u32 v255, exec_hi, v2 :: v_dual_mul_f32 v7, vcc_hi, v3 ; encoding: [0x7f,0x30,0x50,0xcf,0x6b,0x00,0x02,0x00,0xff,0x03,0x00,0x07]
// W64-ERR: :[[@LINE-2]]:1: error: instruction requires wavesize=32

v_dual_sub_nc_u32 v255, exec_lo, v2 :: v_dual_mul_f32 v7, ttmp15, v3
// GFX1250: v_dual_sub_nc_u32 v255, exec_lo, v2 :: v_dual_mul_f32 v7, ttmp15, v3 ; encoding: [0x7e,0x30,0x50,0xcf,0x7b,0x00,0x02,0x00,0xff,0x03,0x00,0x07]
// W64-ERR: :[[@LINE-2]]:1: error: instruction requires wavesize=32

v_dual_sub_nc_u32 v255, m0, v2 :: v_dual_mul_f32 v7, m0, v3
// GFX1250: v_dual_sub_nc_u32 v255, m0, v2 :: v_dual_mul_f32 v7, m0, v3 ; encoding: [0x7d,0x30,0x50,0xcf,0x7d,0x00,0x02,0x00,0xff,0x03,0x00,0x07]
// W64-ERR: :[[@LINE-2]]:1: error: instruction requires wavesize=32

v_dual_sub_nc_u32 v255, vcc_hi, v2 :: v_dual_mul_f32 v7, exec_lo, v3
// GFX1250: v_dual_sub_nc_u32 v255, vcc_hi, v2 :: v_dual_mul_f32 v7, exec_lo, v3 ; encoding: [0x6b,0x30,0x50,0xcf,0x7e,0x00,0x02,0x00,0xff,0x03,0x00,0x07]
// W64-ERR: :[[@LINE-2]]:1: error: instruction requires wavesize=32

v_dual_sub_nc_u32 v255, vcc_lo, v2 :: v_dual_mul_f32 v7, exec_hi, v3
// GFX1250: v_dual_sub_nc_u32 v255, vcc_lo, v2 :: v_dual_mul_f32 v7, exec_hi, v3 ; encoding: [0x6a,0x30,0x50,0xcf,0x7f,0x00,0x02,0x00,0xff,0x03,0x00,0x07]
// W64-ERR: :[[@LINE-2]]:1: error: instruction requires wavesize=32

v_dual_sub_nc_u32 v255, src_scc, v2 :: v_dual_mul_f32 v7, -1, v3
// GFX1250: v_dual_sub_nc_u32 v255, src_scc, v2 :: v_dual_mul_f32 v7, -1, v3 ; encoding: [0xfd,0x30,0x50,0xcf,0xc1,0x00,0x02,0x00,0xff,0x03,0x00,0x07]
// W64-ERR: :[[@LINE-2]]:1: error: instruction requires wavesize=32

v_dual_sub_nc_u32 v255, 0.5, v3 :: v_dual_mul_f32 v7, 0.5, v2
// GFX1250: v_dual_sub_nc_u32 v255, 0.5, v3 :: v_dual_mul_f32 v7, 0.5, v2 ; encoding: [0xf0,0x30,0x50,0xcf,0xf0,0x00,0x03,0x00,0xff,0x02,0x00,0x07]
// W64-ERR: :[[@LINE-2]]:1: error: instruction requires wavesize=32

v_dual_sub_nc_u32 v255, -1, v4 :: v_dual_mul_f32 v7, src_scc, v5
// GFX1250: v_dual_sub_nc_u32 v255, -1, v4 :: v_dual_mul_f32 v7, src_scc, v5 ; encoding: [0xc1,0x30,0x50,0xcf,0xfd,0x00,0x04,0x00,0xff,0x05,0x00,0x07]
// W64-ERR: :[[@LINE-2]]:1: error: instruction requires wavesize=32

v_dual_sub_nc_u32 v255, v4, v2 :: v_dual_sub_f32 v7, v1, v3
// GFX1250: v_dual_sub_nc_u32 v255, v4, v2 :: v_dual_sub_f32 v7, v1, v3 ; encoding: [0x04,0x51,0x50,0xcf,0x01,0x01,0x02,0x00,0xff,0x03,0x00,0x07]
// W64-ERR: :[[@LINE-2]]:1: error: instruction requires wavesize=32

v_dual_sub_nc_u32 v255, v1, v2 :: v_dual_sub_f32 v7, v255, v3
// GFX1250: v_dual_sub_nc_u32 v255, v1, v2 :: v_dual_sub_f32 v7, v255, v3 ; encoding: [0x01,0x51,0x50,0xcf,0xff,0x01,0x02,0x00,0xff,0x03,0x00,0x07]
	;; [unrolled: 4-line block ×7, first 2 shown]
// W64-ERR: :[[@LINE-2]]:1: error: instruction requires wavesize=32

v_dual_sub_nc_u32 v255, ttmp15, v2 :: v_dual_sub_f32 v7, vcc_lo, v3
// GFX1250: v_dual_sub_nc_u32 v255, ttmp15, v2 :: v_dual_sub_f32 v7, vcc_lo, v3 ; encoding: [0x7b,0x50,0x50,0xcf,0x6a,0x00,0x02,0x00,0xff,0x03,0x00,0x07]
// W64-ERR: :[[@LINE-2]]:1: error: instruction requires wavesize=32

v_dual_sub_nc_u32 v255, exec_hi, v2 :: v_dual_sub_f32 v7, vcc_hi, v3
// GFX1250: v_dual_sub_nc_u32 v255, exec_hi, v2 :: v_dual_sub_f32 v7, vcc_hi, v3 ; encoding: [0x7f,0x50,0x50,0xcf,0x6b,0x00,0x02,0x00,0xff,0x03,0x00,0x07]
// W64-ERR: :[[@LINE-2]]:1: error: instruction requires wavesize=32

v_dual_sub_nc_u32 v255, exec_lo, v2 :: v_dual_sub_f32 v7, ttmp15, v3
// GFX1250: v_dual_sub_nc_u32 v255, exec_lo, v2 :: v_dual_sub_f32 v7, ttmp15, v3 ; encoding: [0x7e,0x50,0x50,0xcf,0x7b,0x00,0x02,0x00,0xff,0x03,0x00,0x07]
// W64-ERR: :[[@LINE-2]]:1: error: instruction requires wavesize=32

v_dual_sub_nc_u32 v255, m0, v2 :: v_dual_sub_f32 v7, m0, v3
// GFX1250: v_dual_sub_nc_u32 v255, m0, v2 :: v_dual_sub_f32 v7, m0, v3 ; encoding: [0x7d,0x50,0x50,0xcf,0x7d,0x00,0x02,0x00,0xff,0x03,0x00,0x07]
// W64-ERR: :[[@LINE-2]]:1: error: instruction requires wavesize=32

v_dual_sub_nc_u32 v255, vcc_hi, v2 :: v_dual_sub_f32 v7, exec_lo, v3
// GFX1250: v_dual_sub_nc_u32 v255, vcc_hi, v2 :: v_dual_sub_f32 v7, exec_lo, v3 ; encoding: [0x6b,0x50,0x50,0xcf,0x7e,0x00,0x02,0x00,0xff,0x03,0x00,0x07]
// W64-ERR: :[[@LINE-2]]:1: error: instruction requires wavesize=32

v_dual_sub_nc_u32 v255, vcc_lo, v2 :: v_dual_sub_f32 v7, exec_hi, v3
// GFX1250: v_dual_sub_nc_u32 v255, vcc_lo, v2 :: v_dual_sub_f32 v7, exec_hi, v3 ; encoding: [0x6a,0x50,0x50,0xcf,0x7f,0x00,0x02,0x00,0xff,0x03,0x00,0x07]
// W64-ERR: :[[@LINE-2]]:1: error: instruction requires wavesize=32

v_dual_sub_nc_u32 v255, src_scc, v2 :: v_dual_sub_f32 v7, -1, v3
// GFX1250: v_dual_sub_nc_u32 v255, src_scc, v2 :: v_dual_sub_f32 v7, -1, v3 ; encoding: [0xfd,0x50,0x50,0xcf,0xc1,0x00,0x02,0x00,0xff,0x03,0x00,0x07]
// W64-ERR: :[[@LINE-2]]:1: error: instruction requires wavesize=32

v_dual_sub_nc_u32 v255, 0.5, v3 :: v_dual_sub_f32 v7, 0.5, v2
// GFX1250: v_dual_sub_nc_u32 v255, 0.5, v3 :: v_dual_sub_f32 v7, 0.5, v2 ; encoding: [0xf0,0x50,0x50,0xcf,0xf0,0x00,0x03,0x00,0xff,0x02,0x00,0x07]
// W64-ERR: :[[@LINE-2]]:1: error: instruction requires wavesize=32

v_dual_sub_nc_u32 v255, -1, v4 :: v_dual_sub_f32 v7, src_scc, v5
// GFX1250: v_dual_sub_nc_u32 v255, -1, v4 :: v_dual_sub_f32 v7, src_scc, v5 ; encoding: [0xc1,0x50,0x50,0xcf,0xfd,0x00,0x04,0x00,0xff,0x05,0x00,0x07]
// W64-ERR: :[[@LINE-2]]:1: error: instruction requires wavesize=32

v_dual_sub_nc_u32 v255, v4, v2 :: v_dual_subrev_f32 v7, v1, v3
// GFX1250: v_dual_sub_nc_u32 v255, v4, v2 :: v_dual_subrev_f32 v7, v1, v3 ; encoding: [0x04,0x61,0x50,0xcf,0x01,0x01,0x02,0x00,0xff,0x03,0x00,0x07]
// W64-ERR: :[[@LINE-2]]:1: error: instruction requires wavesize=32

v_dual_sub_nc_u32 v255, v1, v2 :: v_dual_subrev_f32 v7, v255, v3
// GFX1250: v_dual_sub_nc_u32 v255, v1, v2 :: v_dual_subrev_f32 v7, v255, v3 ; encoding: [0x01,0x61,0x50,0xcf,0xff,0x01,0x02,0x00,0xff,0x03,0x00,0x07]
	;; [unrolled: 4-line block ×7, first 2 shown]
// W64-ERR: :[[@LINE-2]]:1: error: instruction requires wavesize=32

v_dual_sub_nc_u32 v255, ttmp15, v2 :: v_dual_subrev_f32 v7, vcc_lo, v3
// GFX1250: v_dual_sub_nc_u32 v255, ttmp15, v2 :: v_dual_subrev_f32 v7, vcc_lo, v3 ; encoding: [0x7b,0x60,0x50,0xcf,0x6a,0x00,0x02,0x00,0xff,0x03,0x00,0x07]
// W64-ERR: :[[@LINE-2]]:1: error: instruction requires wavesize=32

v_dual_sub_nc_u32 v255, exec_hi, v2 :: v_dual_subrev_f32 v7, vcc_hi, v3
// GFX1250: v_dual_sub_nc_u32 v255, exec_hi, v2 :: v_dual_subrev_f32 v7, vcc_hi, v3 ; encoding: [0x7f,0x60,0x50,0xcf,0x6b,0x00,0x02,0x00,0xff,0x03,0x00,0x07]
// W64-ERR: :[[@LINE-2]]:1: error: instruction requires wavesize=32

v_dual_sub_nc_u32 v255, exec_lo, v2 :: v_dual_subrev_f32 v7, ttmp15, v3
// GFX1250: v_dual_sub_nc_u32 v255, exec_lo, v2 :: v_dual_subrev_f32 v7, ttmp15, v3 ; encoding: [0x7e,0x60,0x50,0xcf,0x7b,0x00,0x02,0x00,0xff,0x03,0x00,0x07]
// W64-ERR: :[[@LINE-2]]:1: error: instruction requires wavesize=32

v_dual_sub_nc_u32 v255, m0, v2 :: v_dual_subrev_f32 v7, m0, v3
// GFX1250: v_dual_sub_nc_u32 v255, m0, v2 :: v_dual_subrev_f32 v7, m0, v3 ; encoding: [0x7d,0x60,0x50,0xcf,0x7d,0x00,0x02,0x00,0xff,0x03,0x00,0x07]
// W64-ERR: :[[@LINE-2]]:1: error: instruction requires wavesize=32

v_dual_sub_nc_u32 v255, vcc_hi, v2 :: v_dual_subrev_f32 v7, exec_lo, v3
// GFX1250: v_dual_sub_nc_u32 v255, vcc_hi, v2 :: v_dual_subrev_f32 v7, exec_lo, v3 ; encoding: [0x6b,0x60,0x50,0xcf,0x7e,0x00,0x02,0x00,0xff,0x03,0x00,0x07]
// W64-ERR: :[[@LINE-2]]:1: error: instruction requires wavesize=32

v_dual_sub_nc_u32 v255, vcc_lo, v2 :: v_dual_subrev_f32 v7, exec_hi, v3
// GFX1250: v_dual_sub_nc_u32 v255, vcc_lo, v2 :: v_dual_subrev_f32 v7, exec_hi, v3 ; encoding: [0x6a,0x60,0x50,0xcf,0x7f,0x00,0x02,0x00,0xff,0x03,0x00,0x07]
// W64-ERR: :[[@LINE-2]]:1: error: instruction requires wavesize=32

v_dual_sub_nc_u32 v255, src_scc, v2 :: v_dual_subrev_f32 v7, -1, v3
// GFX1250: v_dual_sub_nc_u32 v255, src_scc, v2 :: v_dual_subrev_f32 v7, -1, v3 ; encoding: [0xfd,0x60,0x50,0xcf,0xc1,0x00,0x02,0x00,0xff,0x03,0x00,0x07]
// W64-ERR: :[[@LINE-2]]:1: error: instruction requires wavesize=32

v_dual_sub_nc_u32 v255, 0.5, v3 :: v_dual_subrev_f32 v7, 0.5, v2
// GFX1250: v_dual_sub_nc_u32 v255, 0.5, v3 :: v_dual_subrev_f32 v7, 0.5, v2 ; encoding: [0xf0,0x60,0x50,0xcf,0xf0,0x00,0x03,0x00,0xff,0x02,0x00,0x07]
// W64-ERR: :[[@LINE-2]]:1: error: instruction requires wavesize=32

v_dual_sub_nc_u32 v255, -1, v4 :: v_dual_subrev_f32 v7, src_scc, v5
// GFX1250: v_dual_sub_nc_u32 v255, -1, v4 :: v_dual_subrev_f32 v7, src_scc, v5 ; encoding: [0xc1,0x60,0x50,0xcf,0xfd,0x00,0x04,0x00,0xff,0x05,0x00,0x07]
// W64-ERR: :[[@LINE-2]]:1: error: instruction requires wavesize=32

v_dual_sub_nc_u32 v254, v4, v2 :: v_dual_fma_f32 v7, v1, v3, v4
// GFX1250: v_dual_sub_nc_u32 v254, v4, v2 :: v_dual_fma_f32 v7, v1, v3, v4 ; encoding: [0x04,0x31,0x51,0xcf,0x01,0x01,0x02,0x00,0xfe,0x03,0x04,0x07]
// W64-ERR: :[[@LINE-2]]:1: error: instruction requires wavesize=32

v_dual_sub_nc_u32 v254, v4, v2 :: v_dual_sub_nc_u32 v9, v1, v13
// GFX1250: v_dual_sub_nc_u32 v254, v4, v2 :: v_dual_sub_nc_u32 v9, v1, v13 ; encoding: [0x04,0x41,0x51,0xcf,0x01,0x01,0x02,0x00,0xfe,0x0d,0x00,0x09]
// W64-ERR: :[[@LINE-2]]:1: error: instruction requires wavesize=32

v_dual_sub_nc_u32 v254, v4, v2 :: v_dual_lshrrev_b32 v9, v1, v13
// GFX1250: v_dual_sub_nc_u32 v254, v4, v2 :: v_dual_lshrrev_b32 v9, v1, v13 ; encoding: [0x04,0x51,0x51,0xcf,0x01,0x01,0x02,0x00,0xfe,0x0d,0x00,0x09]
// W64-ERR: :[[@LINE-2]]:1: error: instruction requires wavesize=32

v_dual_sub_nc_u32 v254, v4, v2 :: v_dual_ashrrev_i32 v9, v1, v13
// GFX1250: v_dual_sub_nc_u32 v254, v4, v2 :: v_dual_ashrrev_i32 v9, v1, v13 ; encoding: [0x04,0x61,0x51,0xcf,0x01,0x01,0x02,0x00,0xfe,0x0d,0x00,0x09]
// W64-ERR: :[[@LINE-2]]:1: error: instruction requires wavesize=32

v_dual_sub_nc_u32 v254, v4, v2 :: v_dual_bitop2_b32 v7, v1, v3 bitop3:0x86
// GFX1250: v_dual_sub_nc_u32 v254, v4, v2 :: v_dual_bitop2_b32 v7, v1, v3 bitop3:0x86 ; encoding: [0x04,0x21,0x51,0xcf,0x01,0x01,0x02,0x00,0xfe,0x03,0x86,0x07]
// W64-ERR: :[[@LINE-2]]:1: error: instruction requires wavesize=32

v_dual_ashrrev_i32 v254, v4, v2 :: v_dual_add_f32 v7, v1, v3
// GFX1250: v_dual_ashrrev_i32 v254, v4, v2 :: v_dual_add_f32 v7, v1, v3 ; encoding: [0x04,0x41,0x58,0xcf,0x01,0x01,0x02,0x00,0xfe,0x03,0x00,0x07]
// W64-ERR: :[[@LINE-2]]:1: error: instruction requires wavesize=32

v_dual_ashrrev_i32 v255, v1, v2 :: v_dual_add_f32 v7, v255, v3
// GFX1250: v_dual_ashrrev_i32 v255, v1, v2 :: v_dual_add_f32 v7, v255, v3 ; encoding: [0x01,0x41,0x58,0xcf,0xff,0x01,0x02,0x00,0xff,0x03,0x00,0x07]
	;; [unrolled: 4-line block ×7, first 2 shown]
// W64-ERR: :[[@LINE-2]]:1: error: instruction requires wavesize=32

v_dual_ashrrev_i32 v255, ttmp15, v2 :: v_dual_add_f32 v7, vcc_lo, v3
// GFX1250: v_dual_ashrrev_i32 v255, ttmp15, v2 :: v_dual_add_f32 v7, vcc_lo, v3 ; encoding: [0x7b,0x40,0x58,0xcf,0x6a,0x00,0x02,0x00,0xff,0x03,0x00,0x07]
// W64-ERR: :[[@LINE-2]]:1: error: instruction requires wavesize=32

v_dual_ashrrev_i32 v255, exec_hi, v2 :: v_dual_add_f32 v7, vcc_hi, v3
// GFX1250: v_dual_ashrrev_i32 v255, exec_hi, v2 :: v_dual_add_f32 v7, vcc_hi, v3 ; encoding: [0x7f,0x40,0x58,0xcf,0x6b,0x00,0x02,0x00,0xff,0x03,0x00,0x07]
// W64-ERR: :[[@LINE-2]]:1: error: instruction requires wavesize=32

v_dual_ashrrev_i32 v255, exec_lo, v2 :: v_dual_add_f32 v7, ttmp15, v3
// GFX1250: v_dual_ashrrev_i32 v255, exec_lo, v2 :: v_dual_add_f32 v7, ttmp15, v3 ; encoding: [0x7e,0x40,0x58,0xcf,0x7b,0x00,0x02,0x00,0xff,0x03,0x00,0x07]
// W64-ERR: :[[@LINE-2]]:1: error: instruction requires wavesize=32

v_dual_ashrrev_i32 v255, m0, v2 :: v_dual_add_f32 v7, m0, v3
// GFX1250: v_dual_ashrrev_i32 v255, m0, v2 :: v_dual_add_f32 v7, m0, v3 ; encoding: [0x7d,0x40,0x58,0xcf,0x7d,0x00,0x02,0x00,0xff,0x03,0x00,0x07]
// W64-ERR: :[[@LINE-2]]:1: error: instruction requires wavesize=32

v_dual_ashrrev_i32 v255, vcc_hi, v2 :: v_dual_add_f32 v7, exec_lo, v3
// GFX1250: v_dual_ashrrev_i32 v255, vcc_hi, v2 :: v_dual_add_f32 v7, exec_lo, v3 ; encoding: [0x6b,0x40,0x58,0xcf,0x7e,0x00,0x02,0x00,0xff,0x03,0x00,0x07]
// W64-ERR: :[[@LINE-2]]:1: error: instruction requires wavesize=32

v_dual_ashrrev_i32 v255, vcc_lo, v2 :: v_dual_add_f32 v7, exec_hi, v3
// GFX1250: v_dual_ashrrev_i32 v255, vcc_lo, v2 :: v_dual_add_f32 v7, exec_hi, v3 ; encoding: [0x6a,0x40,0x58,0xcf,0x7f,0x00,0x02,0x00,0xff,0x03,0x00,0x07]
// W64-ERR: :[[@LINE-2]]:1: error: instruction requires wavesize=32

v_dual_ashrrev_i32 v255, src_scc, v2 :: v_dual_add_f32 v7, -1, v3
// GFX1250: v_dual_ashrrev_i32 v255, src_scc, v2 :: v_dual_add_f32 v7, -1, v3 ; encoding: [0xfd,0x40,0x58,0xcf,0xc1,0x00,0x02,0x00,0xff,0x03,0x00,0x07]
// W64-ERR: :[[@LINE-2]]:1: error: instruction requires wavesize=32

v_dual_ashrrev_i32 v255, 0.5, v3 :: v_dual_add_f32 v7, 0.5, v2
// GFX1250: v_dual_ashrrev_i32 v255, 0.5, v3 :: v_dual_add_f32 v7, 0.5, v2 ; encoding: [0xf0,0x40,0x58,0xcf,0xf0,0x00,0x03,0x00,0xff,0x02,0x00,0x07]
// W64-ERR: :[[@LINE-2]]:1: error: instruction requires wavesize=32

v_dual_ashrrev_i32 v255, -1, v4 :: v_dual_add_f32 v7, src_scc, v5
// GFX1250: v_dual_ashrrev_i32 v255, -1, v4 :: v_dual_add_f32 v7, src_scc, v5 ; encoding: [0xc1,0x40,0x58,0xcf,0xfd,0x00,0x04,0x00,0xff,0x05,0x00,0x07]
// W64-ERR: :[[@LINE-2]]:1: error: instruction requires wavesize=32

v_dual_ashrrev_i32 v255, v4, v2 :: v_dual_add_nc_u32 v7, v1, v3
// GFX1250: v_dual_ashrrev_i32 v255, v4, v2 :: v_dual_add_nc_u32 v7, v1, v3 ; encoding: [0x04,0x01,0x59,0xcf,0x01,0x01,0x02,0x00,0xff,0x03,0x00,0x07]
// W64-ERR: :[[@LINE-2]]:1: error: instruction requires wavesize=32

v_dual_ashrrev_i32 v255, v1, v2 :: v_dual_add_nc_u32 v7, v255, v3
// GFX1250: v_dual_ashrrev_i32 v255, v1, v2 :: v_dual_add_nc_u32 v7, v255, v3 ; encoding: [0x01,0x01,0x59,0xcf,0xff,0x01,0x02,0x00,0xff,0x03,0x00,0x07]
	;; [unrolled: 4-line block ×7, first 2 shown]
// W64-ERR: :[[@LINE-2]]:1: error: instruction requires wavesize=32

v_dual_ashrrev_i32 v255, ttmp15, v2 :: v_dual_add_nc_u32 v7, vcc_lo, v3
// GFX1250: v_dual_ashrrev_i32 v255, ttmp15, v2 :: v_dual_add_nc_u32 v7, vcc_lo, v3 ; encoding: [0x7b,0x00,0x59,0xcf,0x6a,0x00,0x02,0x00,0xff,0x03,0x00,0x07]
// W64-ERR: :[[@LINE-2]]:1: error: instruction requires wavesize=32

v_dual_ashrrev_i32 v255, exec_hi, v2 :: v_dual_add_nc_u32 v7, vcc_hi, v3
// GFX1250: v_dual_ashrrev_i32 v255, exec_hi, v2 :: v_dual_add_nc_u32 v7, vcc_hi, v3 ; encoding: [0x7f,0x00,0x59,0xcf,0x6b,0x00,0x02,0x00,0xff,0x03,0x00,0x07]
// W64-ERR: :[[@LINE-2]]:1: error: instruction requires wavesize=32

v_dual_ashrrev_i32 v255, exec_lo, v2 :: v_dual_add_nc_u32 v7, ttmp15, v3
// GFX1250: v_dual_ashrrev_i32 v255, exec_lo, v2 :: v_dual_add_nc_u32 v7, ttmp15, v3 ; encoding: [0x7e,0x00,0x59,0xcf,0x7b,0x00,0x02,0x00,0xff,0x03,0x00,0x07]
// W64-ERR: :[[@LINE-2]]:1: error: instruction requires wavesize=32

v_dual_ashrrev_i32 v255, m0, v2 :: v_dual_add_nc_u32 v7, m0, v3
// GFX1250: v_dual_ashrrev_i32 v255, m0, v2 :: v_dual_add_nc_u32 v7, m0, v3 ; encoding: [0x7d,0x00,0x59,0xcf,0x7d,0x00,0x02,0x00,0xff,0x03,0x00,0x07]
// W64-ERR: :[[@LINE-2]]:1: error: instruction requires wavesize=32

v_dual_ashrrev_i32 v255, vcc_hi, v2 :: v_dual_add_nc_u32 v7, exec_lo, v3
// GFX1250: v_dual_ashrrev_i32 v255, vcc_hi, v2 :: v_dual_add_nc_u32 v7, exec_lo, v3 ; encoding: [0x6b,0x00,0x59,0xcf,0x7e,0x00,0x02,0x00,0xff,0x03,0x00,0x07]
// W64-ERR: :[[@LINE-2]]:1: error: instruction requires wavesize=32

v_dual_ashrrev_i32 v255, vcc_lo, v2 :: v_dual_add_nc_u32 v7, exec_hi, v3
// GFX1250: v_dual_ashrrev_i32 v255, vcc_lo, v2 :: v_dual_add_nc_u32 v7, exec_hi, v3 ; encoding: [0x6a,0x00,0x59,0xcf,0x7f,0x00,0x02,0x00,0xff,0x03,0x00,0x07]
// W64-ERR: :[[@LINE-2]]:1: error: instruction requires wavesize=32

v_dual_ashrrev_i32 v255, src_scc, v2 :: v_dual_add_nc_u32 v7, -1, v3
// GFX1250: v_dual_ashrrev_i32 v255, src_scc, v2 :: v_dual_add_nc_u32 v7, -1, v3 ; encoding: [0xfd,0x00,0x59,0xcf,0xc1,0x00,0x02,0x00,0xff,0x03,0x00,0x07]
// W64-ERR: :[[@LINE-2]]:1: error: instruction requires wavesize=32

v_dual_ashrrev_i32 v255, 0.5, v3 :: v_dual_add_nc_u32 v7, 0.5, v2
// GFX1250: v_dual_ashrrev_i32 v255, 0.5, v3 :: v_dual_add_nc_u32 v7, 0.5, v2 ; encoding: [0xf0,0x00,0x59,0xcf,0xf0,0x00,0x03,0x00,0xff,0x02,0x00,0x07]
// W64-ERR: :[[@LINE-2]]:1: error: instruction requires wavesize=32

v_dual_ashrrev_i32 v255, -1, v4 :: v_dual_add_nc_u32 v7, src_scc, v5
// GFX1250: v_dual_ashrrev_i32 v255, -1, v4 :: v_dual_add_nc_u32 v7, src_scc, v5 ; encoding: [0xc1,0x00,0x59,0xcf,0xfd,0x00,0x04,0x00,0xff,0x05,0x00,0x07]
// W64-ERR: :[[@LINE-2]]:1: error: instruction requires wavesize=32

v_dual_ashrrev_i32 v255, v4, v2 :: v_dual_cndmask_b32 v7, v1, v3, vcc_lo
// GFX1250: v_dual_ashrrev_i32 v255, v4, v2 :: v_dual_cndmask_b32 v7, v1, v3, vcc_lo ; encoding: [0x04,0x91,0x58,0xcf,0x01,0x01,0x02,0x00,0xff,0x03,0x6a,0x07]
// W64-ERR: :[[@LINE-2]]:1: error: instruction requires wavesize=32

v_dual_ashrrev_i32 v255, v1, v2 :: v_dual_cndmask_b32 v7, v255, v3, vcc_lo
// GFX1250: v_dual_ashrrev_i32 v255, v1, v2 :: v_dual_cndmask_b32 v7, v255, v3, vcc_lo ; encoding: [0x01,0x91,0x58,0xcf,0xff,0x01,0x02,0x00,0xff,0x03,0x6a,0x07]
	;; [unrolled: 4-line block ×7, first 2 shown]
// W64-ERR: :[[@LINE-2]]:1: error: instruction requires wavesize=32

v_dual_ashrrev_i32 v255, ttmp15, v2 :: v_dual_cndmask_b32 v7, ttmp15, v3, vcc_lo
// GFX1250: v_dual_ashrrev_i32 v255, ttmp15, v2 :: v_dual_cndmask_b32 v7, ttmp15, v3, vcc_lo ; encoding: [0x7b,0x90,0x58,0xcf,0x7b,0x00,0x02,0x00,0xff,0x03,0x6a,0x07]
// W64-ERR: :[[@LINE-2]]:1: error: instruction requires wavesize=32

v_dual_ashrrev_i32 v255, exec_hi, v2 :: v_dual_cndmask_b32 v7, exec_hi, v3, vcc_lo
// GFX1250: v_dual_ashrrev_i32 v255, exec_hi, v2 :: v_dual_cndmask_b32 v7, exec_hi, v3, vcc_lo ; encoding: [0x7f,0x90,0x58,0xcf,0x7f,0x00,0x02,0x00,0xff,0x03,0x6a,0x07]
// W64-ERR: :[[@LINE-2]]:1: error: instruction requires wavesize=32

v_dual_ashrrev_i32 v255, exec_lo, v2 :: v_dual_cndmask_b32 v7, exec_lo, v3, vcc_lo
// GFX1250: v_dual_ashrrev_i32 v255, exec_lo, v2 :: v_dual_cndmask_b32 v7, exec_lo, v3, vcc_lo ; encoding: [0x7e,0x90,0x58,0xcf,0x7e,0x00,0x02,0x00,0xff,0x03,0x6a,0x07]
// W64-ERR: :[[@LINE-2]]:1: error: instruction requires wavesize=32

v_dual_ashrrev_i32 v255, m0, v2 :: v_dual_cndmask_b32 v7, m0, v3, vcc_lo
// GFX1250: v_dual_ashrrev_i32 v255, m0, v2 :: v_dual_cndmask_b32 v7, m0, v3, vcc_lo ; encoding: [0x7d,0x90,0x58,0xcf,0x7d,0x00,0x02,0x00,0xff,0x03,0x6a,0x07]
// W64-ERR: :[[@LINE-2]]:1: error: instruction requires wavesize=32

v_dual_ashrrev_i32 v255, vcc_hi, v2 :: v_dual_cndmask_b32 v7, vcc_hi, v3, vcc_lo
// GFX1250: v_dual_ashrrev_i32 v255, vcc_hi, v2 :: v_dual_cndmask_b32 v7, vcc_hi, v3, vcc_lo ; encoding: [0x6b,0x90,0x58,0xcf,0x6b,0x00,0x02,0x00,0xff,0x03,0x6a,0x07]
// W64-ERR: :[[@LINE-2]]:1: error: instruction requires wavesize=32

v_dual_ashrrev_i32 v255, vcc_lo, v2 :: v_dual_cndmask_b32 v7, vcc_lo, v3, vcc_lo
// GFX1250: v_dual_ashrrev_i32 v255, vcc_lo, v2 :: v_dual_cndmask_b32 v7, vcc_lo, v3, vcc_lo ; encoding: [0x6a,0x90,0x58,0xcf,0x6a,0x00,0x02,0x00,0xff,0x03,0x6a,0x07]
// W64-ERR: :[[@LINE-2]]:1: error: instruction requires wavesize=32

v_dual_ashrrev_i32 v255, src_scc, v2 :: v_dual_cndmask_b32 v7, -1, v3, vcc_lo
// GFX1250: v_dual_ashrrev_i32 v255, src_scc, v2 :: v_dual_cndmask_b32 v7, -1, v3, vcc_lo ; encoding: [0xfd,0x90,0x58,0xcf,0xc1,0x00,0x02,0x00,0xff,0x03,0x6a,0x07]
// W64-ERR: :[[@LINE-2]]:1: error: instruction requires wavesize=32

v_dual_ashrrev_i32 v255, 0.5, v3 :: v_dual_cndmask_b32 v7, 0.5, v2, vcc_lo
// GFX1250: v_dual_ashrrev_i32 v255, 0.5, v3 :: v_dual_cndmask_b32 v7, 0.5, v2, vcc_lo ; encoding: [0xf0,0x90,0x58,0xcf,0xf0,0x00,0x03,0x00,0xff,0x02,0x6a,0x07]
// W64-ERR: :[[@LINE-2]]:1: error: instruction requires wavesize=32

v_dual_ashrrev_i32 v255, -1, v4 :: v_dual_cndmask_b32 v7, src_scc, v5, vcc_lo
// GFX1250: v_dual_ashrrev_i32 v255, -1, v4 :: v_dual_cndmask_b32 v7, src_scc, v5, vcc_lo ; encoding: [0xc1,0x90,0x58,0xcf,0xfd,0x00,0x04,0x00,0xff,0x05,0x6a,0x07]
// W64-ERR: :[[@LINE-2]]:1: error: instruction requires wavesize=32

v_dual_ashrrev_i32 v255, v4, v2 :: v_dual_fmac_f32 v7, v1, v3
// GFX1250: v_dual_ashrrev_i32 v255, v4, v2 :: v_dual_fmac_f32 v7, v1, v3 ; encoding: [0x04,0x01,0x58,0xcf,0x01,0x01,0x02,0x00,0xff,0x03,0x00,0x07]
// W64-ERR: :[[@LINE-2]]:1: error: instruction requires wavesize=32

v_dual_ashrrev_i32 v255, v1, v2 :: v_dual_fmac_f32 v7, v255, v3
// GFX1250: v_dual_ashrrev_i32 v255, v1, v2 :: v_dual_fmac_f32 v7, v255, v3 ; encoding: [0x01,0x01,0x58,0xcf,0xff,0x01,0x02,0x00,0xff,0x03,0x00,0x07]
	;; [unrolled: 4-line block ×7, first 2 shown]
// W64-ERR: :[[@LINE-2]]:1: error: instruction requires wavesize=32

v_dual_ashrrev_i32 v255, ttmp15, v2 :: v_dual_fmac_f32 v7, vcc_lo, v3
// GFX1250: v_dual_ashrrev_i32 v255, ttmp15, v2 :: v_dual_fmac_f32 v7, vcc_lo, v3 ; encoding: [0x7b,0x00,0x58,0xcf,0x6a,0x00,0x02,0x00,0xff,0x03,0x00,0x07]
// W64-ERR: :[[@LINE-2]]:1: error: instruction requires wavesize=32

v_dual_ashrrev_i32 v255, exec_hi, v2 :: v_dual_fmac_f32 v7, vcc_hi, v3
// GFX1250: v_dual_ashrrev_i32 v255, exec_hi, v2 :: v_dual_fmac_f32 v7, vcc_hi, v3 ; encoding: [0x7f,0x00,0x58,0xcf,0x6b,0x00,0x02,0x00,0xff,0x03,0x00,0x07]
// W64-ERR: :[[@LINE-2]]:1: error: instruction requires wavesize=32

v_dual_ashrrev_i32 v255, exec_lo, v2 :: v_dual_fmac_f32 v7, ttmp15, v3
// GFX1250: v_dual_ashrrev_i32 v255, exec_lo, v2 :: v_dual_fmac_f32 v7, ttmp15, v3 ; encoding: [0x7e,0x00,0x58,0xcf,0x7b,0x00,0x02,0x00,0xff,0x03,0x00,0x07]
// W64-ERR: :[[@LINE-2]]:1: error: instruction requires wavesize=32

v_dual_ashrrev_i32 v255, m0, v2 :: v_dual_fmac_f32 v7, m0, v3
// GFX1250: v_dual_ashrrev_i32 v255, m0, v2 :: v_dual_fmac_f32 v7, m0, v3 ; encoding: [0x7d,0x00,0x58,0xcf,0x7d,0x00,0x02,0x00,0xff,0x03,0x00,0x07]
// W64-ERR: :[[@LINE-2]]:1: error: instruction requires wavesize=32

v_dual_ashrrev_i32 v255, vcc_hi, v2 :: v_dual_fmac_f32 v7, exec_lo, v3
// GFX1250: v_dual_ashrrev_i32 v255, vcc_hi, v2 :: v_dual_fmac_f32 v7, exec_lo, v3 ; encoding: [0x6b,0x00,0x58,0xcf,0x7e,0x00,0x02,0x00,0xff,0x03,0x00,0x07]
// W64-ERR: :[[@LINE-2]]:1: error: instruction requires wavesize=32

v_dual_ashrrev_i32 v255, vcc_lo, v2 :: v_dual_fmac_f32 v7, exec_hi, v3
// GFX1250: v_dual_ashrrev_i32 v255, vcc_lo, v2 :: v_dual_fmac_f32 v7, exec_hi, v3 ; encoding: [0x6a,0x00,0x58,0xcf,0x7f,0x00,0x02,0x00,0xff,0x03,0x00,0x07]
// W64-ERR: :[[@LINE-2]]:1: error: instruction requires wavesize=32

v_dual_ashrrev_i32 v255, src_scc, v2 :: v_dual_fmac_f32 v7, -1, v3
// GFX1250: v_dual_ashrrev_i32 v255, src_scc, v2 :: v_dual_fmac_f32 v7, -1, v3 ; encoding: [0xfd,0x00,0x58,0xcf,0xc1,0x00,0x02,0x00,0xff,0x03,0x00,0x07]
// W64-ERR: :[[@LINE-2]]:1: error: instruction requires wavesize=32

v_dual_ashrrev_i32 v255, 0.5, v3 :: v_dual_fmac_f32 v7, 0.5, v2
// GFX1250: v_dual_ashrrev_i32 v255, 0.5, v3 :: v_dual_fmac_f32 v7, 0.5, v2 ; encoding: [0xf0,0x00,0x58,0xcf,0xf0,0x00,0x03,0x00,0xff,0x02,0x00,0x07]
// W64-ERR: :[[@LINE-2]]:1: error: instruction requires wavesize=32

v_dual_ashrrev_i32 v255, -1, v4 :: v_dual_fmac_f32 v7, src_scc, v5
// GFX1250: v_dual_ashrrev_i32 v255, -1, v4 :: v_dual_fmac_f32 v7, src_scc, v5 ; encoding: [0xc1,0x00,0x58,0xcf,0xfd,0x00,0x04,0x00,0xff,0x05,0x00,0x07]
// W64-ERR: :[[@LINE-2]]:1: error: instruction requires wavesize=32

v_dual_ashrrev_i32 v255, v4, v2 :: v_dual_lshlrev_b32 v7, v1, v3
// GFX1250: v_dual_ashrrev_i32 v255, v4, v2 :: v_dual_lshlrev_b32 v7, v1, v3 ; encoding: [0x04,0x11,0x59,0xcf,0x01,0x01,0x02,0x00,0xff,0x03,0x00,0x07]
// W64-ERR: :[[@LINE-2]]:1: error: instruction requires wavesize=32

v_dual_ashrrev_i32 v255, v1, v2 :: v_dual_lshlrev_b32 v7, v255, v3
// GFX1250: v_dual_ashrrev_i32 v255, v1, v2 :: v_dual_lshlrev_b32 v7, v255, v3 ; encoding: [0x01,0x11,0x59,0xcf,0xff,0x01,0x02,0x00,0xff,0x03,0x00,0x07]
	;; [unrolled: 4-line block ×7, first 2 shown]
// W64-ERR: :[[@LINE-2]]:1: error: instruction requires wavesize=32

v_dual_ashrrev_i32 v255, ttmp15, v2 :: v_dual_lshlrev_b32 v7, vcc_lo, v3
// GFX1250: v_dual_ashrrev_i32 v255, ttmp15, v2 :: v_dual_lshlrev_b32 v7, vcc_lo, v3 ; encoding: [0x7b,0x10,0x59,0xcf,0x6a,0x00,0x02,0x00,0xff,0x03,0x00,0x07]
// W64-ERR: :[[@LINE-2]]:1: error: instruction requires wavesize=32

v_dual_ashrrev_i32 v255, exec_hi, v2 :: v_dual_lshlrev_b32 v7, vcc_hi, v3
// GFX1250: v_dual_ashrrev_i32 v255, exec_hi, v2 :: v_dual_lshlrev_b32 v7, vcc_hi, v3 ; encoding: [0x7f,0x10,0x59,0xcf,0x6b,0x00,0x02,0x00,0xff,0x03,0x00,0x07]
// W64-ERR: :[[@LINE-2]]:1: error: instruction requires wavesize=32

v_dual_ashrrev_i32 v255, exec_lo, v2 :: v_dual_lshlrev_b32 v7, ttmp15, v3
// GFX1250: v_dual_ashrrev_i32 v255, exec_lo, v2 :: v_dual_lshlrev_b32 v7, ttmp15, v3 ; encoding: [0x7e,0x10,0x59,0xcf,0x7b,0x00,0x02,0x00,0xff,0x03,0x00,0x07]
// W64-ERR: :[[@LINE-2]]:1: error: instruction requires wavesize=32

v_dual_ashrrev_i32 v255, m0, v2 :: v_dual_lshlrev_b32 v7, m0, v3
// GFX1250: v_dual_ashrrev_i32 v255, m0, v2 :: v_dual_lshlrev_b32 v7, m0, v3 ; encoding: [0x7d,0x10,0x59,0xcf,0x7d,0x00,0x02,0x00,0xff,0x03,0x00,0x07]
// W64-ERR: :[[@LINE-2]]:1: error: instruction requires wavesize=32

v_dual_ashrrev_i32 v255, vcc_hi, v2 :: v_dual_lshlrev_b32 v7, exec_lo, v3
// GFX1250: v_dual_ashrrev_i32 v255, vcc_hi, v2 :: v_dual_lshlrev_b32 v7, exec_lo, v3 ; encoding: [0x6b,0x10,0x59,0xcf,0x7e,0x00,0x02,0x00,0xff,0x03,0x00,0x07]
// W64-ERR: :[[@LINE-2]]:1: error: instruction requires wavesize=32

v_dual_ashrrev_i32 v255, vcc_lo, v2 :: v_dual_lshlrev_b32 v7, exec_hi, v3
// GFX1250: v_dual_ashrrev_i32 v255, vcc_lo, v2 :: v_dual_lshlrev_b32 v7, exec_hi, v3 ; encoding: [0x6a,0x10,0x59,0xcf,0x7f,0x00,0x02,0x00,0xff,0x03,0x00,0x07]
// W64-ERR: :[[@LINE-2]]:1: error: instruction requires wavesize=32

v_dual_ashrrev_i32 v255, src_scc, v2 :: v_dual_lshlrev_b32 v7, -1, v3
// GFX1250: v_dual_ashrrev_i32 v255, src_scc, v2 :: v_dual_lshlrev_b32 v7, -1, v3 ; encoding: [0xfd,0x10,0x59,0xcf,0xc1,0x00,0x02,0x00,0xff,0x03,0x00,0x07]
// W64-ERR: :[[@LINE-2]]:1: error: instruction requires wavesize=32

v_dual_ashrrev_i32 v255, 0.5, v3 :: v_dual_lshlrev_b32 v7, 0.5, v2
// GFX1250: v_dual_ashrrev_i32 v255, 0.5, v3 :: v_dual_lshlrev_b32 v7, 0.5, v2 ; encoding: [0xf0,0x10,0x59,0xcf,0xf0,0x00,0x03,0x00,0xff,0x02,0x00,0x07]
// W64-ERR: :[[@LINE-2]]:1: error: instruction requires wavesize=32

v_dual_ashrrev_i32 v255, -1, v4 :: v_dual_lshlrev_b32 v7, src_scc, v5
// GFX1250: v_dual_ashrrev_i32 v255, -1, v4 :: v_dual_lshlrev_b32 v7, src_scc, v5 ; encoding: [0xc1,0x10,0x59,0xcf,0xfd,0x00,0x04,0x00,0xff,0x05,0x00,0x07]
// W64-ERR: :[[@LINE-2]]:1: error: instruction requires wavesize=32

v_dual_ashrrev_i32 v255, v4, v2 :: v_dual_max_num_f32 v7, v1, v3
// GFX1250: v_dual_ashrrev_i32 v255, v4, v2 :: v_dual_max_num_f32 v7, v1, v3 ; encoding: [0x04,0xa1,0x58,0xcf,0x01,0x01,0x02,0x00,0xff,0x03,0x00,0x07]
// W64-ERR: :[[@LINE-2]]:1: error: instruction requires wavesize=32

v_dual_ashrrev_i32 v255, v1, v2 :: v_dual_max_num_f32 v7, v255, v3
// GFX1250: v_dual_ashrrev_i32 v255, v1, v2 :: v_dual_max_num_f32 v7, v255, v3 ; encoding: [0x01,0xa1,0x58,0xcf,0xff,0x01,0x02,0x00,0xff,0x03,0x00,0x07]
	;; [unrolled: 4-line block ×7, first 2 shown]
// W64-ERR: :[[@LINE-2]]:1: error: instruction requires wavesize=32

v_dual_ashrrev_i32 v255, ttmp15, v2 :: v_dual_max_num_f32 v7, vcc_lo, v3
// GFX1250: v_dual_ashrrev_i32 v255, ttmp15, v2 :: v_dual_max_num_f32 v7, vcc_lo, v3 ; encoding: [0x7b,0xa0,0x58,0xcf,0x6a,0x00,0x02,0x00,0xff,0x03,0x00,0x07]
// W64-ERR: :[[@LINE-2]]:1: error: instruction requires wavesize=32

v_dual_ashrrev_i32 v255, exec_hi, v2 :: v_dual_max_num_f32 v7, vcc_hi, v3
// GFX1250: v_dual_ashrrev_i32 v255, exec_hi, v2 :: v_dual_max_num_f32 v7, vcc_hi, v3 ; encoding: [0x7f,0xa0,0x58,0xcf,0x6b,0x00,0x02,0x00,0xff,0x03,0x00,0x07]
// W64-ERR: :[[@LINE-2]]:1: error: instruction requires wavesize=32

v_dual_ashrrev_i32 v255, exec_lo, v2 :: v_dual_max_num_f32 v7, ttmp15, v3
// GFX1250: v_dual_ashrrev_i32 v255, exec_lo, v2 :: v_dual_max_num_f32 v7, ttmp15, v3 ; encoding: [0x7e,0xa0,0x58,0xcf,0x7b,0x00,0x02,0x00,0xff,0x03,0x00,0x07]
// W64-ERR: :[[@LINE-2]]:1: error: instruction requires wavesize=32

v_dual_ashrrev_i32 v255, m0, v2 :: v_dual_max_num_f32 v7, m0, v3
// GFX1250: v_dual_ashrrev_i32 v255, m0, v2 :: v_dual_max_num_f32 v7, m0, v3 ; encoding: [0x7d,0xa0,0x58,0xcf,0x7d,0x00,0x02,0x00,0xff,0x03,0x00,0x07]
// W64-ERR: :[[@LINE-2]]:1: error: instruction requires wavesize=32

v_dual_ashrrev_i32 v255, vcc_hi, v2 :: v_dual_max_num_f32 v7, exec_lo, v3
// GFX1250: v_dual_ashrrev_i32 v255, vcc_hi, v2 :: v_dual_max_num_f32 v7, exec_lo, v3 ; encoding: [0x6b,0xa0,0x58,0xcf,0x7e,0x00,0x02,0x00,0xff,0x03,0x00,0x07]
// W64-ERR: :[[@LINE-2]]:1: error: instruction requires wavesize=32

v_dual_ashrrev_i32 v255, vcc_lo, v2 :: v_dual_max_num_f32 v7, exec_hi, v3
// GFX1250: v_dual_ashrrev_i32 v255, vcc_lo, v2 :: v_dual_max_num_f32 v7, exec_hi, v3 ; encoding: [0x6a,0xa0,0x58,0xcf,0x7f,0x00,0x02,0x00,0xff,0x03,0x00,0x07]
// W64-ERR: :[[@LINE-2]]:1: error: instruction requires wavesize=32

v_dual_ashrrev_i32 v255, src_scc, v2 :: v_dual_max_num_f32 v7, -1, v3
// GFX1250: v_dual_ashrrev_i32 v255, src_scc, v2 :: v_dual_max_num_f32 v7, -1, v3 ; encoding: [0xfd,0xa0,0x58,0xcf,0xc1,0x00,0x02,0x00,0xff,0x03,0x00,0x07]
// W64-ERR: :[[@LINE-2]]:1: error: instruction requires wavesize=32

v_dual_ashrrev_i32 v255, 0.5, v3 :: v_dual_max_num_f32 v7, 0.5, v2
// GFX1250: v_dual_ashrrev_i32 v255, 0.5, v3 :: v_dual_max_num_f32 v7, 0.5, v2 ; encoding: [0xf0,0xa0,0x58,0xcf,0xf0,0x00,0x03,0x00,0xff,0x02,0x00,0x07]
// W64-ERR: :[[@LINE-2]]:1: error: instruction requires wavesize=32

v_dual_ashrrev_i32 v255, -1, v4 :: v_dual_max_num_f32 v7, src_scc, v5
// GFX1250: v_dual_ashrrev_i32 v255, -1, v4 :: v_dual_max_num_f32 v7, src_scc, v5 ; encoding: [0xc1,0xa0,0x58,0xcf,0xfd,0x00,0x04,0x00,0xff,0x05,0x00,0x07]
// W64-ERR: :[[@LINE-2]]:1: error: instruction requires wavesize=32

v_dual_ashrrev_i32 v255, v4, v2 :: v_dual_min_num_f32 v7, v1, v3
// GFX1250: v_dual_ashrrev_i32 v255, v4, v2 :: v_dual_min_num_f32 v7, v1, v3 ; encoding: [0x04,0xb1,0x58,0xcf,0x01,0x01,0x02,0x00,0xff,0x03,0x00,0x07]
// W64-ERR: :[[@LINE-2]]:1: error: instruction requires wavesize=32

v_dual_ashrrev_i32 v255, v1, v2 :: v_dual_min_num_f32 v7, v255, v3
// GFX1250: v_dual_ashrrev_i32 v255, v1, v2 :: v_dual_min_num_f32 v7, v255, v3 ; encoding: [0x01,0xb1,0x58,0xcf,0xff,0x01,0x02,0x00,0xff,0x03,0x00,0x07]
	;; [unrolled: 4-line block ×7, first 2 shown]
// W64-ERR: :[[@LINE-2]]:1: error: instruction requires wavesize=32

v_dual_ashrrev_i32 v255, ttmp15, v2 :: v_dual_min_num_f32 v7, vcc_lo, v3
// GFX1250: v_dual_ashrrev_i32 v255, ttmp15, v2 :: v_dual_min_num_f32 v7, vcc_lo, v3 ; encoding: [0x7b,0xb0,0x58,0xcf,0x6a,0x00,0x02,0x00,0xff,0x03,0x00,0x07]
// W64-ERR: :[[@LINE-2]]:1: error: instruction requires wavesize=32

v_dual_ashrrev_i32 v255, exec_hi, v2 :: v_dual_min_num_f32 v7, vcc_hi, v3
// GFX1250: v_dual_ashrrev_i32 v255, exec_hi, v2 :: v_dual_min_num_f32 v7, vcc_hi, v3 ; encoding: [0x7f,0xb0,0x58,0xcf,0x6b,0x00,0x02,0x00,0xff,0x03,0x00,0x07]
// W64-ERR: :[[@LINE-2]]:1: error: instruction requires wavesize=32

v_dual_ashrrev_i32 v255, exec_lo, v2 :: v_dual_min_num_f32 v7, ttmp15, v3
// GFX1250: v_dual_ashrrev_i32 v255, exec_lo, v2 :: v_dual_min_num_f32 v7, ttmp15, v3 ; encoding: [0x7e,0xb0,0x58,0xcf,0x7b,0x00,0x02,0x00,0xff,0x03,0x00,0x07]
// W64-ERR: :[[@LINE-2]]:1: error: instruction requires wavesize=32

v_dual_ashrrev_i32 v255, m0, v2 :: v_dual_min_num_f32 v7, m0, v3
// GFX1250: v_dual_ashrrev_i32 v255, m0, v2 :: v_dual_min_num_f32 v7, m0, v3 ; encoding: [0x7d,0xb0,0x58,0xcf,0x7d,0x00,0x02,0x00,0xff,0x03,0x00,0x07]
// W64-ERR: :[[@LINE-2]]:1: error: instruction requires wavesize=32

v_dual_ashrrev_i32 v255, vcc_hi, v2 :: v_dual_min_num_f32 v7, exec_lo, v3
// GFX1250: v_dual_ashrrev_i32 v255, vcc_hi, v2 :: v_dual_min_num_f32 v7, exec_lo, v3 ; encoding: [0x6b,0xb0,0x58,0xcf,0x7e,0x00,0x02,0x00,0xff,0x03,0x00,0x07]
// W64-ERR: :[[@LINE-2]]:1: error: instruction requires wavesize=32

v_dual_ashrrev_i32 v255, vcc_lo, v2 :: v_dual_min_num_f32 v7, exec_hi, v3
// GFX1250: v_dual_ashrrev_i32 v255, vcc_lo, v2 :: v_dual_min_num_f32 v7, exec_hi, v3 ; encoding: [0x6a,0xb0,0x58,0xcf,0x7f,0x00,0x02,0x00,0xff,0x03,0x00,0x07]
// W64-ERR: :[[@LINE-2]]:1: error: instruction requires wavesize=32

v_dual_ashrrev_i32 v255, src_scc, v2 :: v_dual_min_num_f32 v7, -1, v3
// GFX1250: v_dual_ashrrev_i32 v255, src_scc, v2 :: v_dual_min_num_f32 v7, -1, v3 ; encoding: [0xfd,0xb0,0x58,0xcf,0xc1,0x00,0x02,0x00,0xff,0x03,0x00,0x07]
// W64-ERR: :[[@LINE-2]]:1: error: instruction requires wavesize=32

v_dual_ashrrev_i32 v255, 0.5, v3 :: v_dual_min_num_f32 v7, 0.5, v2
// GFX1250: v_dual_ashrrev_i32 v255, 0.5, v3 :: v_dual_min_num_f32 v7, 0.5, v2 ; encoding: [0xf0,0xb0,0x58,0xcf,0xf0,0x00,0x03,0x00,0xff,0x02,0x00,0x07]
// W64-ERR: :[[@LINE-2]]:1: error: instruction requires wavesize=32

v_dual_ashrrev_i32 v255, -1, v4 :: v_dual_min_num_f32 v7, src_scc, v5
// GFX1250: v_dual_ashrrev_i32 v255, -1, v4 :: v_dual_min_num_f32 v7, src_scc, v5 ; encoding: [0xc1,0xb0,0x58,0xcf,0xfd,0x00,0x04,0x00,0xff,0x05,0x00,0x07]
// W64-ERR: :[[@LINE-2]]:1: error: instruction requires wavesize=32

v_dual_ashrrev_i32 v255, v4, v255 :: v_dual_mov_b32 v7, v1
// GFX1250: v_dual_ashrrev_i32 v255, v4, v255 :: v_dual_mov_b32 v7, v1 ; encoding: [0x04,0x81,0x58,0xcf,0x01,0x01,0xff,0x00,0xff,0x00,0x00,0x07]
// W64-ERR: :[[@LINE-2]]:1: error: instruction requires wavesize=32

v_dual_ashrrev_i32 v255, v1, v255 :: v_dual_mov_b32 v7, v255
// GFX1250: v_dual_ashrrev_i32 v255, v1, v255 :: v_dual_mov_b32 v7, v255 ; encoding: [0x01,0x81,0x58,0xcf,0xff,0x01,0xff,0x00,0xff,0x00,0x00,0x07]
	;; [unrolled: 4-line block ×7, first 2 shown]
// W64-ERR: :[[@LINE-2]]:1: error: instruction requires wavesize=32

v_dual_ashrrev_i32 v255, ttmp15, v255 :: v_dual_mov_b32 v7, vcc_lo
// GFX1250: v_dual_ashrrev_i32 v255, ttmp15, v255 :: v_dual_mov_b32 v7, vcc_lo ; encoding: [0x7b,0x80,0x58,0xcf,0x6a,0x00,0xff,0x00,0xff,0x00,0x00,0x07]
// W64-ERR: :[[@LINE-2]]:1: error: instruction requires wavesize=32

v_dual_ashrrev_i32 v255, exec_hi, v255 :: v_dual_mov_b32 v7, vcc_hi
// GFX1250: v_dual_ashrrev_i32 v255, exec_hi, v255 :: v_dual_mov_b32 v7, vcc_hi ; encoding: [0x7f,0x80,0x58,0xcf,0x6b,0x00,0xff,0x00,0xff,0x00,0x00,0x07]
// W64-ERR: :[[@LINE-2]]:1: error: instruction requires wavesize=32

v_dual_ashrrev_i32 v255, exec_lo, v255 :: v_dual_mov_b32 v7, ttmp15
// GFX1250: v_dual_ashrrev_i32 v255, exec_lo, v255 :: v_dual_mov_b32 v7, ttmp15 ; encoding: [0x7e,0x80,0x58,0xcf,0x7b,0x00,0xff,0x00,0xff,0x00,0x00,0x07]
// W64-ERR: :[[@LINE-2]]:1: error: instruction requires wavesize=32

v_dual_ashrrev_i32 v255, m0, v255 :: v_dual_mov_b32 v7, m0
// GFX1250: v_dual_ashrrev_i32 v255, m0, v255 :: v_dual_mov_b32 v7, m0 ; encoding: [0x7d,0x80,0x58,0xcf,0x7d,0x00,0xff,0x00,0xff,0x00,0x00,0x07]
// W64-ERR: :[[@LINE-2]]:1: error: instruction requires wavesize=32

v_dual_ashrrev_i32 v255, vcc_hi, v255 :: v_dual_mov_b32 v7, exec_lo
// GFX1250: v_dual_ashrrev_i32 v255, vcc_hi, v255 :: v_dual_mov_b32 v7, exec_lo ; encoding: [0x6b,0x80,0x58,0xcf,0x7e,0x00,0xff,0x00,0xff,0x00,0x00,0x07]
// W64-ERR: :[[@LINE-2]]:1: error: instruction requires wavesize=32

v_dual_ashrrev_i32 v255, vcc_lo, v255 :: v_dual_mov_b32 v7, exec_hi
// GFX1250: v_dual_ashrrev_i32 v255, vcc_lo, v255 :: v_dual_mov_b32 v7, exec_hi ; encoding: [0x6a,0x80,0x58,0xcf,0x7f,0x00,0xff,0x00,0xff,0x00,0x00,0x07]
// W64-ERR: :[[@LINE-2]]:1: error: instruction requires wavesize=32

v_dual_ashrrev_i32 v255, src_scc, v255 :: v_dual_mov_b32 v7, -1
// GFX1250: v_dual_ashrrev_i32 v255, src_scc, v255 :: v_dual_mov_b32 v7, -1 ; encoding: [0xfd,0x80,0x58,0xcf,0xc1,0x00,0xff,0x00,0xff,0x00,0x00,0x07]
// W64-ERR: :[[@LINE-2]]:1: error: instruction requires wavesize=32

v_dual_ashrrev_i32 v255, 0.5, v3 :: v_dual_mov_b32 v7, 0.5
// GFX1250: v_dual_ashrrev_i32 v255, 0.5, v3 :: v_dual_mov_b32 v7, 0.5 ; encoding: [0xf0,0x80,0x58,0xcf,0xf0,0x00,0x03,0x00,0xff,0x00,0x00,0x07]
// W64-ERR: :[[@LINE-2]]:1: error: instruction requires wavesize=32

v_dual_ashrrev_i32 v255, -1, v4 :: v_dual_mov_b32 v7, src_scc
// GFX1250: v_dual_ashrrev_i32 v255, -1, v4 :: v_dual_mov_b32 v7, src_scc ; encoding: [0xc1,0x80,0x58,0xcf,0xfd,0x00,0x04,0x00,0xff,0x00,0x00,0x07]
// W64-ERR: :[[@LINE-2]]:1: error: instruction requires wavesize=32

v_dual_ashrrev_i32 v255, v4, v2 :: v_dual_mul_dx9_zero_f32 v7, v1, v3
// GFX1250: v_dual_ashrrev_i32 v255, v4, v2 :: v_dual_mul_dx9_zero_f32 v7, v1, v3 ; encoding: [0x04,0x71,0x58,0xcf,0x01,0x01,0x02,0x00,0xff,0x03,0x00,0x07]
// W64-ERR: :[[@LINE-2]]:1: error: instruction requires wavesize=32

v_dual_ashrrev_i32 v255, v1, v2 :: v_dual_mul_dx9_zero_f32 v7, v255, v3
// GFX1250: v_dual_ashrrev_i32 v255, v1, v2 :: v_dual_mul_dx9_zero_f32 v7, v255, v3 ; encoding: [0x01,0x71,0x58,0xcf,0xff,0x01,0x02,0x00,0xff,0x03,0x00,0x07]
	;; [unrolled: 4-line block ×7, first 2 shown]
// W64-ERR: :[[@LINE-2]]:1: error: instruction requires wavesize=32

v_dual_ashrrev_i32 v255, ttmp15, v2 :: v_dual_mul_dx9_zero_f32 v7, vcc_lo, v3
// GFX1250: v_dual_ashrrev_i32 v255, ttmp15, v2 :: v_dual_mul_dx9_zero_f32 v7, vcc_lo, v3 ; encoding: [0x7b,0x70,0x58,0xcf,0x6a,0x00,0x02,0x00,0xff,0x03,0x00,0x07]
// W64-ERR: :[[@LINE-2]]:1: error: instruction requires wavesize=32

v_dual_ashrrev_i32 v255, exec_hi, v2 :: v_dual_mul_dx9_zero_f32 v7, vcc_hi, v3
// GFX1250: v_dual_ashrrev_i32 v255, exec_hi, v2 :: v_dual_mul_dx9_zero_f32 v7, vcc_hi, v3 ; encoding: [0x7f,0x70,0x58,0xcf,0x6b,0x00,0x02,0x00,0xff,0x03,0x00,0x07]
// W64-ERR: :[[@LINE-2]]:1: error: instruction requires wavesize=32

v_dual_ashrrev_i32 v255, exec_lo, v2 :: v_dual_mul_dx9_zero_f32 v7, ttmp15, v3
// GFX1250: v_dual_ashrrev_i32 v255, exec_lo, v2 :: v_dual_mul_dx9_zero_f32 v7, ttmp15, v3 ; encoding: [0x7e,0x70,0x58,0xcf,0x7b,0x00,0x02,0x00,0xff,0x03,0x00,0x07]
// W64-ERR: :[[@LINE-2]]:1: error: instruction requires wavesize=32

v_dual_ashrrev_i32 v255, m0, v2 :: v_dual_mul_dx9_zero_f32 v7, m0, v3
// GFX1250: v_dual_ashrrev_i32 v255, m0, v2 :: v_dual_mul_dx9_zero_f32 v7, m0, v3 ; encoding: [0x7d,0x70,0x58,0xcf,0x7d,0x00,0x02,0x00,0xff,0x03,0x00,0x07]
// W64-ERR: :[[@LINE-2]]:1: error: instruction requires wavesize=32

v_dual_ashrrev_i32 v255, vcc_hi, v2 :: v_dual_mul_dx9_zero_f32 v7, exec_lo, v3
// GFX1250: v_dual_ashrrev_i32 v255, vcc_hi, v2 :: v_dual_mul_dx9_zero_f32 v7, exec_lo, v3 ; encoding: [0x6b,0x70,0x58,0xcf,0x7e,0x00,0x02,0x00,0xff,0x03,0x00,0x07]
// W64-ERR: :[[@LINE-2]]:1: error: instruction requires wavesize=32

v_dual_ashrrev_i32 v255, vcc_lo, v2 :: v_dual_mul_dx9_zero_f32 v7, exec_hi, v3
// GFX1250: v_dual_ashrrev_i32 v255, vcc_lo, v2 :: v_dual_mul_dx9_zero_f32 v7, exec_hi, v3 ; encoding: [0x6a,0x70,0x58,0xcf,0x7f,0x00,0x02,0x00,0xff,0x03,0x00,0x07]
// W64-ERR: :[[@LINE-2]]:1: error: instruction requires wavesize=32

v_dual_ashrrev_i32 v255, src_scc, v2 :: v_dual_mul_dx9_zero_f32 v7, -1, v3
// GFX1250: v_dual_ashrrev_i32 v255, src_scc, v2 :: v_dual_mul_dx9_zero_f32 v7, -1, v3 ; encoding: [0xfd,0x70,0x58,0xcf,0xc1,0x00,0x02,0x00,0xff,0x03,0x00,0x07]
// W64-ERR: :[[@LINE-2]]:1: error: instruction requires wavesize=32

v_dual_ashrrev_i32 v255, 0.5, v3 :: v_dual_mul_dx9_zero_f32 v7, 0.5, v2
// GFX1250: v_dual_ashrrev_i32 v255, 0.5, v3 :: v_dual_mul_dx9_zero_f32 v7, 0.5, v2 ; encoding: [0xf0,0x70,0x58,0xcf,0xf0,0x00,0x03,0x00,0xff,0x02,0x00,0x07]
// W64-ERR: :[[@LINE-2]]:1: error: instruction requires wavesize=32

v_dual_ashrrev_i32 v255, -1, v4 :: v_dual_mul_dx9_zero_f32 v7, src_scc, v5
// GFX1250: v_dual_ashrrev_i32 v255, -1, v4 :: v_dual_mul_dx9_zero_f32 v7, src_scc, v5 ; encoding: [0xc1,0x70,0x58,0xcf,0xfd,0x00,0x04,0x00,0xff,0x05,0x00,0x07]
// W64-ERR: :[[@LINE-2]]:1: error: instruction requires wavesize=32

v_dual_ashrrev_i32 v255, v4, v2 :: v_dual_mul_f32 v7, v1, v3
// GFX1250: v_dual_ashrrev_i32 v255, v4, v2 :: v_dual_mul_f32 v7, v1, v3 ; encoding: [0x04,0x31,0x58,0xcf,0x01,0x01,0x02,0x00,0xff,0x03,0x00,0x07]
// W64-ERR: :[[@LINE-2]]:1: error: instruction requires wavesize=32

v_dual_ashrrev_i32 v255, v1, v2 :: v_dual_mul_f32 v7, v255, v3
// GFX1250: v_dual_ashrrev_i32 v255, v1, v2 :: v_dual_mul_f32 v7, v255, v3 ; encoding: [0x01,0x31,0x58,0xcf,0xff,0x01,0x02,0x00,0xff,0x03,0x00,0x07]
	;; [unrolled: 4-line block ×7, first 2 shown]
// W64-ERR: :[[@LINE-2]]:1: error: instruction requires wavesize=32

v_dual_ashrrev_i32 v255, ttmp15, v2 :: v_dual_mul_f32 v7, vcc_lo, v3
// GFX1250: v_dual_ashrrev_i32 v255, ttmp15, v2 :: v_dual_mul_f32 v7, vcc_lo, v3 ; encoding: [0x7b,0x30,0x58,0xcf,0x6a,0x00,0x02,0x00,0xff,0x03,0x00,0x07]
// W64-ERR: :[[@LINE-2]]:1: error: instruction requires wavesize=32

v_dual_ashrrev_i32 v255, exec_hi, v2 :: v_dual_mul_f32 v7, vcc_hi, v3
// GFX1250: v_dual_ashrrev_i32 v255, exec_hi, v2 :: v_dual_mul_f32 v7, vcc_hi, v3 ; encoding: [0x7f,0x30,0x58,0xcf,0x6b,0x00,0x02,0x00,0xff,0x03,0x00,0x07]
// W64-ERR: :[[@LINE-2]]:1: error: instruction requires wavesize=32

v_dual_ashrrev_i32 v255, exec_lo, v2 :: v_dual_mul_f32 v7, ttmp15, v3
// GFX1250: v_dual_ashrrev_i32 v255, exec_lo, v2 :: v_dual_mul_f32 v7, ttmp15, v3 ; encoding: [0x7e,0x30,0x58,0xcf,0x7b,0x00,0x02,0x00,0xff,0x03,0x00,0x07]
// W64-ERR: :[[@LINE-2]]:1: error: instruction requires wavesize=32

v_dual_ashrrev_i32 v255, m0, v2 :: v_dual_mul_f32 v7, m0, v3
// GFX1250: v_dual_ashrrev_i32 v255, m0, v2 :: v_dual_mul_f32 v7, m0, v3 ; encoding: [0x7d,0x30,0x58,0xcf,0x7d,0x00,0x02,0x00,0xff,0x03,0x00,0x07]
// W64-ERR: :[[@LINE-2]]:1: error: instruction requires wavesize=32

v_dual_ashrrev_i32 v255, vcc_hi, v2 :: v_dual_mul_f32 v7, exec_lo, v3
// GFX1250: v_dual_ashrrev_i32 v255, vcc_hi, v2 :: v_dual_mul_f32 v7, exec_lo, v3 ; encoding: [0x6b,0x30,0x58,0xcf,0x7e,0x00,0x02,0x00,0xff,0x03,0x00,0x07]
// W64-ERR: :[[@LINE-2]]:1: error: instruction requires wavesize=32

v_dual_ashrrev_i32 v255, vcc_lo, v2 :: v_dual_mul_f32 v7, exec_hi, v3
// GFX1250: v_dual_ashrrev_i32 v255, vcc_lo, v2 :: v_dual_mul_f32 v7, exec_hi, v3 ; encoding: [0x6a,0x30,0x58,0xcf,0x7f,0x00,0x02,0x00,0xff,0x03,0x00,0x07]
// W64-ERR: :[[@LINE-2]]:1: error: instruction requires wavesize=32

v_dual_ashrrev_i32 v255, src_scc, v2 :: v_dual_mul_f32 v7, -1, v3
// GFX1250: v_dual_ashrrev_i32 v255, src_scc, v2 :: v_dual_mul_f32 v7, -1, v3 ; encoding: [0xfd,0x30,0x58,0xcf,0xc1,0x00,0x02,0x00,0xff,0x03,0x00,0x07]
// W64-ERR: :[[@LINE-2]]:1: error: instruction requires wavesize=32

v_dual_ashrrev_i32 v255, 0.5, v3 :: v_dual_mul_f32 v7, 0.5, v2
// GFX1250: v_dual_ashrrev_i32 v255, 0.5, v3 :: v_dual_mul_f32 v7, 0.5, v2 ; encoding: [0xf0,0x30,0x58,0xcf,0xf0,0x00,0x03,0x00,0xff,0x02,0x00,0x07]
// W64-ERR: :[[@LINE-2]]:1: error: instruction requires wavesize=32

v_dual_ashrrev_i32 v255, -1, v4 :: v_dual_mul_f32 v7, src_scc, v5
// GFX1250: v_dual_ashrrev_i32 v255, -1, v4 :: v_dual_mul_f32 v7, src_scc, v5 ; encoding: [0xc1,0x30,0x58,0xcf,0xfd,0x00,0x04,0x00,0xff,0x05,0x00,0x07]
// W64-ERR: :[[@LINE-2]]:1: error: instruction requires wavesize=32

v_dual_ashrrev_i32 v255, v4, v2 :: v_dual_sub_f32 v7, v1, v3
// GFX1250: v_dual_ashrrev_i32 v255, v4, v2 :: v_dual_sub_f32 v7, v1, v3 ; encoding: [0x04,0x51,0x58,0xcf,0x01,0x01,0x02,0x00,0xff,0x03,0x00,0x07]
// W64-ERR: :[[@LINE-2]]:1: error: instruction requires wavesize=32

v_dual_ashrrev_i32 v255, v1, v2 :: v_dual_sub_f32 v7, v255, v3
// GFX1250: v_dual_ashrrev_i32 v255, v1, v2 :: v_dual_sub_f32 v7, v255, v3 ; encoding: [0x01,0x51,0x58,0xcf,0xff,0x01,0x02,0x00,0xff,0x03,0x00,0x07]
// W64-ERR: :[[@LINE-2]]:1: error: instruction requires wavesize=32

v_dual_ashrrev_i32 v255, v255, v2 :: v_dual_sub_f32 v7, v2, v3
// GFX1250: v_dual_ashrrev_i32 v255, v255, v2 :: v_dual_sub_f32 v7, v2, v3 ; encoding: [0xff,0x51,0x58,0xcf,0x02,0x01,0x02,0x00,0xff,0x03,0x00,0x07]
// W64-ERR: :[[@LINE-2]]:1: error: instruction requires wavesize=32

v_dual_ashrrev_i32 v255, v2, v2 :: v_dual_sub_f32 v7, v3, v3
// GFX1250: v_dual_ashrrev_i32 v255, v2, v2 :: v_dual_sub_f32 v7, v3, v3 ; encoding: [0x02,0x51,0x58,0xcf,0x03,0x01,0x02,0x00,0xff,0x03,0x00,0x07]
// W64-ERR: :[[@LINE-2]]:1: error: instruction requires wavesize=32

v_dual_ashrrev_i32 v255, v3, v2 :: v_dual_sub_f32 v7, v4, v3
// GFX1250: v_dual_ashrrev_i32 v255, v3, v2 :: v_dual_sub_f32 v7, v4, v3 ; encoding: [0x03,0x51,0x58,0xcf,0x04,0x01,0x02,0x00,0xff,0x03,0x00,0x07]
// W64-ERR: :[[@LINE-2]]:1: error: instruction requires wavesize=32

v_dual_ashrrev_i32 v255, s105, v2 :: v_dual_sub_f32 v7, s1, v3
// GFX1250: v_dual_ashrrev_i32 v255, s105, v2 :: v_dual_sub_f32 v7, s1, v3 ; encoding: [0x69,0x50,0x58,0xcf,0x01,0x00,0x02,0x00,0xff,0x03,0x00,0x07]
// W64-ERR: :[[@LINE-2]]:1: error: instruction requires wavesize=32

v_dual_ashrrev_i32 v255, s1, v2 :: v_dual_sub_f32 v7, s105, v3
// GFX1250: v_dual_ashrrev_i32 v255, s1, v2 :: v_dual_sub_f32 v7, s105, v3 ; encoding: [0x01,0x50,0x58,0xcf,0x69,0x00,0x02,0x00,0xff,0x03,0x00,0x07]
// W64-ERR: :[[@LINE-2]]:1: error: instruction requires wavesize=32

v_dual_ashrrev_i32 v255, ttmp15, v2 :: v_dual_sub_f32 v7, vcc_lo, v3
// GFX1250: v_dual_ashrrev_i32 v255, ttmp15, v2 :: v_dual_sub_f32 v7, vcc_lo, v3 ; encoding: [0x7b,0x50,0x58,0xcf,0x6a,0x00,0x02,0x00,0xff,0x03,0x00,0x07]
// W64-ERR: :[[@LINE-2]]:1: error: instruction requires wavesize=32

v_dual_ashrrev_i32 v255, exec_hi, v2 :: v_dual_sub_f32 v7, vcc_hi, v3
// GFX1250: v_dual_ashrrev_i32 v255, exec_hi, v2 :: v_dual_sub_f32 v7, vcc_hi, v3 ; encoding: [0x7f,0x50,0x58,0xcf,0x6b,0x00,0x02,0x00,0xff,0x03,0x00,0x07]
// W64-ERR: :[[@LINE-2]]:1: error: instruction requires wavesize=32

v_dual_ashrrev_i32 v255, exec_lo, v2 :: v_dual_sub_f32 v7, ttmp15, v3
// GFX1250: v_dual_ashrrev_i32 v255, exec_lo, v2 :: v_dual_sub_f32 v7, ttmp15, v3 ; encoding: [0x7e,0x50,0x58,0xcf,0x7b,0x00,0x02,0x00,0xff,0x03,0x00,0x07]
// W64-ERR: :[[@LINE-2]]:1: error: instruction requires wavesize=32

v_dual_ashrrev_i32 v255, m0, v2 :: v_dual_sub_f32 v7, m0, v3
// GFX1250: v_dual_ashrrev_i32 v255, m0, v2 :: v_dual_sub_f32 v7, m0, v3 ; encoding: [0x7d,0x50,0x58,0xcf,0x7d,0x00,0x02,0x00,0xff,0x03,0x00,0x07]
// W64-ERR: :[[@LINE-2]]:1: error: instruction requires wavesize=32

v_dual_ashrrev_i32 v255, vcc_hi, v2 :: v_dual_sub_f32 v7, exec_lo, v3
// GFX1250: v_dual_ashrrev_i32 v255, vcc_hi, v2 :: v_dual_sub_f32 v7, exec_lo, v3 ; encoding: [0x6b,0x50,0x58,0xcf,0x7e,0x00,0x02,0x00,0xff,0x03,0x00,0x07]
// W64-ERR: :[[@LINE-2]]:1: error: instruction requires wavesize=32

v_dual_ashrrev_i32 v255, vcc_lo, v2 :: v_dual_sub_f32 v7, exec_hi, v3
// GFX1250: v_dual_ashrrev_i32 v255, vcc_lo, v2 :: v_dual_sub_f32 v7, exec_hi, v3 ; encoding: [0x6a,0x50,0x58,0xcf,0x7f,0x00,0x02,0x00,0xff,0x03,0x00,0x07]
// W64-ERR: :[[@LINE-2]]:1: error: instruction requires wavesize=32

v_dual_ashrrev_i32 v255, src_scc, v2 :: v_dual_sub_f32 v7, -1, v3
// GFX1250: v_dual_ashrrev_i32 v255, src_scc, v2 :: v_dual_sub_f32 v7, -1, v3 ; encoding: [0xfd,0x50,0x58,0xcf,0xc1,0x00,0x02,0x00,0xff,0x03,0x00,0x07]
// W64-ERR: :[[@LINE-2]]:1: error: instruction requires wavesize=32

v_dual_ashrrev_i32 v255, 0.5, v3 :: v_dual_sub_f32 v7, 0.5, v2
// GFX1250: v_dual_ashrrev_i32 v255, 0.5, v3 :: v_dual_sub_f32 v7, 0.5, v2 ; encoding: [0xf0,0x50,0x58,0xcf,0xf0,0x00,0x03,0x00,0xff,0x02,0x00,0x07]
// W64-ERR: :[[@LINE-2]]:1: error: instruction requires wavesize=32

v_dual_ashrrev_i32 v255, -1, v4 :: v_dual_sub_f32 v7, src_scc, v5
// GFX1250: v_dual_ashrrev_i32 v255, -1, v4 :: v_dual_sub_f32 v7, src_scc, v5 ; encoding: [0xc1,0x50,0x58,0xcf,0xfd,0x00,0x04,0x00,0xff,0x05,0x00,0x07]
// W64-ERR: :[[@LINE-2]]:1: error: instruction requires wavesize=32

v_dual_ashrrev_i32 v255, v4, v2 :: v_dual_subrev_f32 v7, v1, v3
// GFX1250: v_dual_ashrrev_i32 v255, v4, v2 :: v_dual_subrev_f32 v7, v1, v3 ; encoding: [0x04,0x61,0x58,0xcf,0x01,0x01,0x02,0x00,0xff,0x03,0x00,0x07]
// W64-ERR: :[[@LINE-2]]:1: error: instruction requires wavesize=32

v_dual_ashrrev_i32 v255, v1, v2 :: v_dual_subrev_f32 v7, v255, v3
// GFX1250: v_dual_ashrrev_i32 v255, v1, v2 :: v_dual_subrev_f32 v7, v255, v3 ; encoding: [0x01,0x61,0x58,0xcf,0xff,0x01,0x02,0x00,0xff,0x03,0x00,0x07]
	;; [unrolled: 4-line block ×7, first 2 shown]
// W64-ERR: :[[@LINE-2]]:1: error: instruction requires wavesize=32

v_dual_ashrrev_i32 v255, ttmp15, v2 :: v_dual_subrev_f32 v7, vcc_lo, v3
// GFX1250: v_dual_ashrrev_i32 v255, ttmp15, v2 :: v_dual_subrev_f32 v7, vcc_lo, v3 ; encoding: [0x7b,0x60,0x58,0xcf,0x6a,0x00,0x02,0x00,0xff,0x03,0x00,0x07]
// W64-ERR: :[[@LINE-2]]:1: error: instruction requires wavesize=32

v_dual_ashrrev_i32 v255, exec_hi, v2 :: v_dual_subrev_f32 v7, vcc_hi, v3
// GFX1250: v_dual_ashrrev_i32 v255, exec_hi, v2 :: v_dual_subrev_f32 v7, vcc_hi, v3 ; encoding: [0x7f,0x60,0x58,0xcf,0x6b,0x00,0x02,0x00,0xff,0x03,0x00,0x07]
// W64-ERR: :[[@LINE-2]]:1: error: instruction requires wavesize=32

v_dual_ashrrev_i32 v255, exec_lo, v2 :: v_dual_subrev_f32 v7, ttmp15, v3
// GFX1250: v_dual_ashrrev_i32 v255, exec_lo, v2 :: v_dual_subrev_f32 v7, ttmp15, v3 ; encoding: [0x7e,0x60,0x58,0xcf,0x7b,0x00,0x02,0x00,0xff,0x03,0x00,0x07]
// W64-ERR: :[[@LINE-2]]:1: error: instruction requires wavesize=32

v_dual_ashrrev_i32 v255, m0, v2 :: v_dual_subrev_f32 v7, m0, v3
// GFX1250: v_dual_ashrrev_i32 v255, m0, v2 :: v_dual_subrev_f32 v7, m0, v3 ; encoding: [0x7d,0x60,0x58,0xcf,0x7d,0x00,0x02,0x00,0xff,0x03,0x00,0x07]
// W64-ERR: :[[@LINE-2]]:1: error: instruction requires wavesize=32

v_dual_ashrrev_i32 v255, vcc_hi, v2 :: v_dual_subrev_f32 v7, exec_lo, v3
// GFX1250: v_dual_ashrrev_i32 v255, vcc_hi, v2 :: v_dual_subrev_f32 v7, exec_lo, v3 ; encoding: [0x6b,0x60,0x58,0xcf,0x7e,0x00,0x02,0x00,0xff,0x03,0x00,0x07]
// W64-ERR: :[[@LINE-2]]:1: error: instruction requires wavesize=32

v_dual_ashrrev_i32 v255, vcc_lo, v2 :: v_dual_subrev_f32 v7, exec_hi, v3
// GFX1250: v_dual_ashrrev_i32 v255, vcc_lo, v2 :: v_dual_subrev_f32 v7, exec_hi, v3 ; encoding: [0x6a,0x60,0x58,0xcf,0x7f,0x00,0x02,0x00,0xff,0x03,0x00,0x07]
// W64-ERR: :[[@LINE-2]]:1: error: instruction requires wavesize=32

v_dual_ashrrev_i32 v255, src_scc, v2 :: v_dual_subrev_f32 v7, -1, v3
// GFX1250: v_dual_ashrrev_i32 v255, src_scc, v2 :: v_dual_subrev_f32 v7, -1, v3 ; encoding: [0xfd,0x60,0x58,0xcf,0xc1,0x00,0x02,0x00,0xff,0x03,0x00,0x07]
// W64-ERR: :[[@LINE-2]]:1: error: instruction requires wavesize=32

v_dual_ashrrev_i32 v255, 0.5, v3 :: v_dual_subrev_f32 v7, 0.5, v2
// GFX1250: v_dual_ashrrev_i32 v255, 0.5, v3 :: v_dual_subrev_f32 v7, 0.5, v2 ; encoding: [0xf0,0x60,0x58,0xcf,0xf0,0x00,0x03,0x00,0xff,0x02,0x00,0x07]
// W64-ERR: :[[@LINE-2]]:1: error: instruction requires wavesize=32

v_dual_ashrrev_i32 v255, -1, v4 :: v_dual_subrev_f32 v7, src_scc, v5
// GFX1250: v_dual_ashrrev_i32 v255, -1, v4 :: v_dual_subrev_f32 v7, src_scc, v5 ; encoding: [0xc1,0x60,0x58,0xcf,0xfd,0x00,0x04,0x00,0xff,0x05,0x00,0x07]
// W64-ERR: :[[@LINE-2]]:1: error: instruction requires wavesize=32

v_dual_ashrrev_i32 v254, v4, v2 :: v_dual_fma_f32 v7, v1, v3, v4
// GFX1250: v_dual_ashrrev_i32 v254, v4, v2 :: v_dual_fma_f32 v7, v1, v3, v4 ; encoding: [0x04,0x31,0x59,0xcf,0x01,0x01,0x02,0x00,0xfe,0x03,0x04,0x07]
// W64-ERR: :[[@LINE-2]]:1: error: instruction requires wavesize=32

v_dual_ashrrev_i32 v254, v4, v2 :: v_dual_sub_nc_u32 v9, v1, v13
// GFX1250: v_dual_ashrrev_i32 v254, v4, v2 :: v_dual_sub_nc_u32 v9, v1, v13 ; encoding: [0x04,0x41,0x59,0xcf,0x01,0x01,0x02,0x00,0xfe,0x0d,0x00,0x09]
// W64-ERR: :[[@LINE-2]]:1: error: instruction requires wavesize=32

v_dual_ashrrev_i32 v254, v4, v2 :: v_dual_lshrrev_b32 v9, v1, v13
// GFX1250: v_dual_ashrrev_i32 v254, v4, v2 :: v_dual_lshrrev_b32 v9, v1, v13 ; encoding: [0x04,0x51,0x59,0xcf,0x01,0x01,0x02,0x00,0xfe,0x0d,0x00,0x09]
// W64-ERR: :[[@LINE-2]]:1: error: instruction requires wavesize=32

v_dual_ashrrev_i32 v254, v4, v2 :: v_dual_ashrrev_i32 v9, v1, v13
// GFX1250: v_dual_ashrrev_i32 v254, v4, v2 :: v_dual_ashrrev_i32 v9, v1, v13 ; encoding: [0x04,0x61,0x59,0xcf,0x01,0x01,0x02,0x00,0xfe,0x0d,0x00,0x09]
// W64-ERR: :[[@LINE-2]]:1: error: instruction requires wavesize=32

v_dual_ashrrev_i32 v254, v4, v2 :: v_dual_bitop2_b32 v7, v1, v3 bitop3:0x87
// GFX1250: v_dual_ashrrev_i32 v254, v4, v2 :: v_dual_bitop2_b32 v7, v1, v3 bitop3:0x87 ; encoding: [0x04,0x21,0x59,0xcf,0x01,0x01,0x02,0x00,0xfe,0x03,0x87,0x07]
// W64-ERR: :[[@LINE-2]]:1: error: instruction requires wavesize=32

v_dual_lshrrev_b32 v254, v4, v2 :: v_dual_add_f32 v7, v1, v3
// GFX1250: v_dual_lshrrev_b32 v254, v4, v2 :: v_dual_add_f32 v7, v1, v3 ; encoding: [0x04,0x41,0x54,0xcf,0x01,0x01,0x02,0x00,0xfe,0x03,0x00,0x07]
// W64-ERR: :[[@LINE-2]]:1: error: instruction requires wavesize=32

v_dual_lshrrev_b32 v255, v1, v2 :: v_dual_add_f32 v7, v255, v3
// GFX1250: v_dual_lshrrev_b32 v255, v1, v2 :: v_dual_add_f32 v7, v255, v3 ; encoding: [0x01,0x41,0x54,0xcf,0xff,0x01,0x02,0x00,0xff,0x03,0x00,0x07]
	;; [unrolled: 4-line block ×7, first 2 shown]
// W64-ERR: :[[@LINE-2]]:1: error: instruction requires wavesize=32

v_dual_lshrrev_b32 v255, ttmp15, v2 :: v_dual_add_f32 v7, vcc_lo, v3
// GFX1250: v_dual_lshrrev_b32 v255, ttmp15, v2 :: v_dual_add_f32 v7, vcc_lo, v3 ; encoding: [0x7b,0x40,0x54,0xcf,0x6a,0x00,0x02,0x00,0xff,0x03,0x00,0x07]
// W64-ERR: :[[@LINE-2]]:1: error: instruction requires wavesize=32

v_dual_lshrrev_b32 v255, exec_hi, v2 :: v_dual_add_f32 v7, vcc_hi, v3
// GFX1250: v_dual_lshrrev_b32 v255, exec_hi, v2 :: v_dual_add_f32 v7, vcc_hi, v3 ; encoding: [0x7f,0x40,0x54,0xcf,0x6b,0x00,0x02,0x00,0xff,0x03,0x00,0x07]
// W64-ERR: :[[@LINE-2]]:1: error: instruction requires wavesize=32

v_dual_lshrrev_b32 v255, exec_lo, v2 :: v_dual_add_f32 v7, ttmp15, v3
// GFX1250: v_dual_lshrrev_b32 v255, exec_lo, v2 :: v_dual_add_f32 v7, ttmp15, v3 ; encoding: [0x7e,0x40,0x54,0xcf,0x7b,0x00,0x02,0x00,0xff,0x03,0x00,0x07]
// W64-ERR: :[[@LINE-2]]:1: error: instruction requires wavesize=32

v_dual_lshrrev_b32 v255, m0, v2 :: v_dual_add_f32 v7, m0, v3
// GFX1250: v_dual_lshrrev_b32 v255, m0, v2 :: v_dual_add_f32 v7, m0, v3 ; encoding: [0x7d,0x40,0x54,0xcf,0x7d,0x00,0x02,0x00,0xff,0x03,0x00,0x07]
// W64-ERR: :[[@LINE-2]]:1: error: instruction requires wavesize=32

v_dual_lshrrev_b32 v255, vcc_hi, v2 :: v_dual_add_f32 v7, exec_lo, v3
// GFX1250: v_dual_lshrrev_b32 v255, vcc_hi, v2 :: v_dual_add_f32 v7, exec_lo, v3 ; encoding: [0x6b,0x40,0x54,0xcf,0x7e,0x00,0x02,0x00,0xff,0x03,0x00,0x07]
// W64-ERR: :[[@LINE-2]]:1: error: instruction requires wavesize=32

v_dual_lshrrev_b32 v255, vcc_lo, v2 :: v_dual_add_f32 v7, exec_hi, v3
// GFX1250: v_dual_lshrrev_b32 v255, vcc_lo, v2 :: v_dual_add_f32 v7, exec_hi, v3 ; encoding: [0x6a,0x40,0x54,0xcf,0x7f,0x00,0x02,0x00,0xff,0x03,0x00,0x07]
// W64-ERR: :[[@LINE-2]]:1: error: instruction requires wavesize=32

v_dual_lshrrev_b32 v255, src_scc, v2 :: v_dual_add_f32 v7, -1, v3
// GFX1250: v_dual_lshrrev_b32 v255, src_scc, v2 :: v_dual_add_f32 v7, -1, v3 ; encoding: [0xfd,0x40,0x54,0xcf,0xc1,0x00,0x02,0x00,0xff,0x03,0x00,0x07]
// W64-ERR: :[[@LINE-2]]:1: error: instruction requires wavesize=32

v_dual_lshrrev_b32 v255, 0.5, v3 :: v_dual_add_f32 v7, 0.5, v2
// GFX1250: v_dual_lshrrev_b32 v255, 0.5, v3 :: v_dual_add_f32 v7, 0.5, v2 ; encoding: [0xf0,0x40,0x54,0xcf,0xf0,0x00,0x03,0x00,0xff,0x02,0x00,0x07]
// W64-ERR: :[[@LINE-2]]:1: error: instruction requires wavesize=32

v_dual_lshrrev_b32 v255, -1, v4 :: v_dual_add_f32 v7, src_scc, v5
// GFX1250: v_dual_lshrrev_b32 v255, -1, v4 :: v_dual_add_f32 v7, src_scc, v5 ; encoding: [0xc1,0x40,0x54,0xcf,0xfd,0x00,0x04,0x00,0xff,0x05,0x00,0x07]
// W64-ERR: :[[@LINE-2]]:1: error: instruction requires wavesize=32

v_dual_lshrrev_b32 v255, v4, v2 :: v_dual_add_nc_u32 v7, v1, v3
// GFX1250: v_dual_lshrrev_b32 v255, v4, v2 :: v_dual_add_nc_u32 v7, v1, v3 ; encoding: [0x04,0x01,0x55,0xcf,0x01,0x01,0x02,0x00,0xff,0x03,0x00,0x07]
// W64-ERR: :[[@LINE-2]]:1: error: instruction requires wavesize=32

v_dual_lshrrev_b32 v255, v1, v2 :: v_dual_add_nc_u32 v7, v255, v3
// GFX1250: v_dual_lshrrev_b32 v255, v1, v2 :: v_dual_add_nc_u32 v7, v255, v3 ; encoding: [0x01,0x01,0x55,0xcf,0xff,0x01,0x02,0x00,0xff,0x03,0x00,0x07]
	;; [unrolled: 4-line block ×7, first 2 shown]
// W64-ERR: :[[@LINE-2]]:1: error: instruction requires wavesize=32

v_dual_lshrrev_b32 v255, ttmp15, v2 :: v_dual_add_nc_u32 v7, vcc_lo, v3
// GFX1250: v_dual_lshrrev_b32 v255, ttmp15, v2 :: v_dual_add_nc_u32 v7, vcc_lo, v3 ; encoding: [0x7b,0x00,0x55,0xcf,0x6a,0x00,0x02,0x00,0xff,0x03,0x00,0x07]
// W64-ERR: :[[@LINE-2]]:1: error: instruction requires wavesize=32

v_dual_lshrrev_b32 v255, exec_hi, v2 :: v_dual_add_nc_u32 v7, vcc_hi, v3
// GFX1250: v_dual_lshrrev_b32 v255, exec_hi, v2 :: v_dual_add_nc_u32 v7, vcc_hi, v3 ; encoding: [0x7f,0x00,0x55,0xcf,0x6b,0x00,0x02,0x00,0xff,0x03,0x00,0x07]
// W64-ERR: :[[@LINE-2]]:1: error: instruction requires wavesize=32

v_dual_lshrrev_b32 v255, exec_lo, v2 :: v_dual_add_nc_u32 v7, ttmp15, v3
// GFX1250: v_dual_lshrrev_b32 v255, exec_lo, v2 :: v_dual_add_nc_u32 v7, ttmp15, v3 ; encoding: [0x7e,0x00,0x55,0xcf,0x7b,0x00,0x02,0x00,0xff,0x03,0x00,0x07]
// W64-ERR: :[[@LINE-2]]:1: error: instruction requires wavesize=32

v_dual_lshrrev_b32 v255, m0, v2 :: v_dual_add_nc_u32 v7, m0, v3
// GFX1250: v_dual_lshrrev_b32 v255, m0, v2 :: v_dual_add_nc_u32 v7, m0, v3 ; encoding: [0x7d,0x00,0x55,0xcf,0x7d,0x00,0x02,0x00,0xff,0x03,0x00,0x07]
// W64-ERR: :[[@LINE-2]]:1: error: instruction requires wavesize=32

v_dual_lshrrev_b32 v255, vcc_hi, v2 :: v_dual_add_nc_u32 v7, exec_lo, v3
// GFX1250: v_dual_lshrrev_b32 v255, vcc_hi, v2 :: v_dual_add_nc_u32 v7, exec_lo, v3 ; encoding: [0x6b,0x00,0x55,0xcf,0x7e,0x00,0x02,0x00,0xff,0x03,0x00,0x07]
// W64-ERR: :[[@LINE-2]]:1: error: instruction requires wavesize=32

v_dual_lshrrev_b32 v255, vcc_lo, v2 :: v_dual_add_nc_u32 v7, exec_hi, v3
// GFX1250: v_dual_lshrrev_b32 v255, vcc_lo, v2 :: v_dual_add_nc_u32 v7, exec_hi, v3 ; encoding: [0x6a,0x00,0x55,0xcf,0x7f,0x00,0x02,0x00,0xff,0x03,0x00,0x07]
// W64-ERR: :[[@LINE-2]]:1: error: instruction requires wavesize=32

v_dual_lshrrev_b32 v255, src_scc, v2 :: v_dual_add_nc_u32 v7, -1, v3
// GFX1250: v_dual_lshrrev_b32 v255, src_scc, v2 :: v_dual_add_nc_u32 v7, -1, v3 ; encoding: [0xfd,0x00,0x55,0xcf,0xc1,0x00,0x02,0x00,0xff,0x03,0x00,0x07]
// W64-ERR: :[[@LINE-2]]:1: error: instruction requires wavesize=32

v_dual_lshrrev_b32 v255, 0.5, v3 :: v_dual_add_nc_u32 v7, 0.5, v2
// GFX1250: v_dual_lshrrev_b32 v255, 0.5, v3 :: v_dual_add_nc_u32 v7, 0.5, v2 ; encoding: [0xf0,0x00,0x55,0xcf,0xf0,0x00,0x03,0x00,0xff,0x02,0x00,0x07]
// W64-ERR: :[[@LINE-2]]:1: error: instruction requires wavesize=32

v_dual_lshrrev_b32 v255, -1, v4 :: v_dual_add_nc_u32 v7, src_scc, v5
// GFX1250: v_dual_lshrrev_b32 v255, -1, v4 :: v_dual_add_nc_u32 v7, src_scc, v5 ; encoding: [0xc1,0x00,0x55,0xcf,0xfd,0x00,0x04,0x00,0xff,0x05,0x00,0x07]
// W64-ERR: :[[@LINE-2]]:1: error: instruction requires wavesize=32

v_dual_lshrrev_b32 v255, v4, v2 :: v_dual_cndmask_b32 v7, v1, v3, vcc_lo
// GFX1250: v_dual_lshrrev_b32 v255, v4, v2 :: v_dual_cndmask_b32 v7, v1, v3, vcc_lo ; encoding: [0x04,0x91,0x54,0xcf,0x01,0x01,0x02,0x00,0xff,0x03,0x6a,0x07]
// W64-ERR: :[[@LINE-2]]:1: error: instruction requires wavesize=32

v_dual_lshrrev_b32 v255, v1, v2 :: v_dual_cndmask_b32 v7, v255, v3, vcc_lo
// GFX1250: v_dual_lshrrev_b32 v255, v1, v2 :: v_dual_cndmask_b32 v7, v255, v3, vcc_lo ; encoding: [0x01,0x91,0x54,0xcf,0xff,0x01,0x02,0x00,0xff,0x03,0x6a,0x07]
	;; [unrolled: 4-line block ×7, first 2 shown]
// W64-ERR: :[[@LINE-2]]:1: error: instruction requires wavesize=32

v_dual_lshrrev_b32 v255, ttmp15, v2 :: v_dual_cndmask_b32 v7, ttmp15, v3, vcc_lo
// GFX1250: v_dual_lshrrev_b32 v255, ttmp15, v2 :: v_dual_cndmask_b32 v7, ttmp15, v3, vcc_lo ; encoding: [0x7b,0x90,0x54,0xcf,0x7b,0x00,0x02,0x00,0xff,0x03,0x6a,0x07]
// W64-ERR: :[[@LINE-2]]:1: error: instruction requires wavesize=32

v_dual_lshrrev_b32 v255, exec_hi, v2 :: v_dual_cndmask_b32 v7, exec_hi, v3, vcc_lo
// GFX1250: v_dual_lshrrev_b32 v255, exec_hi, v2 :: v_dual_cndmask_b32 v7, exec_hi, v3, vcc_lo ; encoding: [0x7f,0x90,0x54,0xcf,0x7f,0x00,0x02,0x00,0xff,0x03,0x6a,0x07]
// W64-ERR: :[[@LINE-2]]:1: error: instruction requires wavesize=32

v_dual_lshrrev_b32 v255, exec_lo, v2 :: v_dual_cndmask_b32 v7, exec_lo, v3, vcc_lo
// GFX1250: v_dual_lshrrev_b32 v255, exec_lo, v2 :: v_dual_cndmask_b32 v7, exec_lo, v3, vcc_lo ; encoding: [0x7e,0x90,0x54,0xcf,0x7e,0x00,0x02,0x00,0xff,0x03,0x6a,0x07]
// W64-ERR: :[[@LINE-2]]:1: error: instruction requires wavesize=32

v_dual_lshrrev_b32 v255, m0, v2 :: v_dual_cndmask_b32 v7, m0, v3, vcc_lo
// GFX1250: v_dual_lshrrev_b32 v255, m0, v2 :: v_dual_cndmask_b32 v7, m0, v3, vcc_lo ; encoding: [0x7d,0x90,0x54,0xcf,0x7d,0x00,0x02,0x00,0xff,0x03,0x6a,0x07]
// W64-ERR: :[[@LINE-2]]:1: error: instruction requires wavesize=32

v_dual_lshrrev_b32 v255, vcc_hi, v2 :: v_dual_cndmask_b32 v7, vcc_hi, v3, vcc_lo
// GFX1250: v_dual_lshrrev_b32 v255, vcc_hi, v2 :: v_dual_cndmask_b32 v7, vcc_hi, v3, vcc_lo ; encoding: [0x6b,0x90,0x54,0xcf,0x6b,0x00,0x02,0x00,0xff,0x03,0x6a,0x07]
// W64-ERR: :[[@LINE-2]]:1: error: instruction requires wavesize=32

v_dual_lshrrev_b32 v255, vcc_lo, v2 :: v_dual_cndmask_b32 v7, vcc_lo, v3, vcc_lo
// GFX1250: v_dual_lshrrev_b32 v255, vcc_lo, v2 :: v_dual_cndmask_b32 v7, vcc_lo, v3, vcc_lo ; encoding: [0x6a,0x90,0x54,0xcf,0x6a,0x00,0x02,0x00,0xff,0x03,0x6a,0x07]
// W64-ERR: :[[@LINE-2]]:1: error: instruction requires wavesize=32

v_dual_lshrrev_b32 v255, src_scc, v2 :: v_dual_cndmask_b32 v7, -1, v3, vcc_lo
// GFX1250: v_dual_lshrrev_b32 v255, src_scc, v2 :: v_dual_cndmask_b32 v7, -1, v3, vcc_lo ; encoding: [0xfd,0x90,0x54,0xcf,0xc1,0x00,0x02,0x00,0xff,0x03,0x6a,0x07]
// W64-ERR: :[[@LINE-2]]:1: error: instruction requires wavesize=32

v_dual_lshrrev_b32 v255, 0.5, v3 :: v_dual_cndmask_b32 v7, 0.5, v2, vcc_lo
// GFX1250: v_dual_lshrrev_b32 v255, 0.5, v3 :: v_dual_cndmask_b32 v7, 0.5, v2, vcc_lo ; encoding: [0xf0,0x90,0x54,0xcf,0xf0,0x00,0x03,0x00,0xff,0x02,0x6a,0x07]
// W64-ERR: :[[@LINE-2]]:1: error: instruction requires wavesize=32

v_dual_lshrrev_b32 v255, -1, v4 :: v_dual_cndmask_b32 v7, src_scc, v5, vcc_lo
// GFX1250: v_dual_lshrrev_b32 v255, -1, v4 :: v_dual_cndmask_b32 v7, src_scc, v5, vcc_lo ; encoding: [0xc1,0x90,0x54,0xcf,0xfd,0x00,0x04,0x00,0xff,0x05,0x6a,0x07]
// W64-ERR: :[[@LINE-2]]:1: error: instruction requires wavesize=32

v_dual_lshrrev_b32 v255, v4, v2 :: v_dual_fmac_f32 v7, v1, v3
// GFX1250: v_dual_lshrrev_b32 v255, v4, v2 :: v_dual_fmac_f32 v7, v1, v3 ; encoding: [0x04,0x01,0x54,0xcf,0x01,0x01,0x02,0x00,0xff,0x03,0x00,0x07]
// W64-ERR: :[[@LINE-2]]:1: error: instruction requires wavesize=32

v_dual_lshrrev_b32 v255, v1, v2 :: v_dual_fmac_f32 v7, v255, v3
// GFX1250: v_dual_lshrrev_b32 v255, v1, v2 :: v_dual_fmac_f32 v7, v255, v3 ; encoding: [0x01,0x01,0x54,0xcf,0xff,0x01,0x02,0x00,0xff,0x03,0x00,0x07]
	;; [unrolled: 4-line block ×7, first 2 shown]
// W64-ERR: :[[@LINE-2]]:1: error: instruction requires wavesize=32

v_dual_lshrrev_b32 v255, ttmp15, v2 :: v_dual_fmac_f32 v7, vcc_lo, v3
// GFX1250: v_dual_lshrrev_b32 v255, ttmp15, v2 :: v_dual_fmac_f32 v7, vcc_lo, v3 ; encoding: [0x7b,0x00,0x54,0xcf,0x6a,0x00,0x02,0x00,0xff,0x03,0x00,0x07]
// W64-ERR: :[[@LINE-2]]:1: error: instruction requires wavesize=32

v_dual_lshrrev_b32 v255, exec_hi, v2 :: v_dual_fmac_f32 v7, vcc_hi, v3
// GFX1250: v_dual_lshrrev_b32 v255, exec_hi, v2 :: v_dual_fmac_f32 v7, vcc_hi, v3 ; encoding: [0x7f,0x00,0x54,0xcf,0x6b,0x00,0x02,0x00,0xff,0x03,0x00,0x07]
// W64-ERR: :[[@LINE-2]]:1: error: instruction requires wavesize=32

v_dual_lshrrev_b32 v255, exec_lo, v2 :: v_dual_fmac_f32 v7, ttmp15, v3
// GFX1250: v_dual_lshrrev_b32 v255, exec_lo, v2 :: v_dual_fmac_f32 v7, ttmp15, v3 ; encoding: [0x7e,0x00,0x54,0xcf,0x7b,0x00,0x02,0x00,0xff,0x03,0x00,0x07]
// W64-ERR: :[[@LINE-2]]:1: error: instruction requires wavesize=32

v_dual_lshrrev_b32 v255, m0, v2 :: v_dual_fmac_f32 v7, m0, v3
// GFX1250: v_dual_lshrrev_b32 v255, m0, v2 :: v_dual_fmac_f32 v7, m0, v3 ; encoding: [0x7d,0x00,0x54,0xcf,0x7d,0x00,0x02,0x00,0xff,0x03,0x00,0x07]
// W64-ERR: :[[@LINE-2]]:1: error: instruction requires wavesize=32

v_dual_lshrrev_b32 v255, vcc_hi, v2 :: v_dual_fmac_f32 v7, exec_lo, v3
// GFX1250: v_dual_lshrrev_b32 v255, vcc_hi, v2 :: v_dual_fmac_f32 v7, exec_lo, v3 ; encoding: [0x6b,0x00,0x54,0xcf,0x7e,0x00,0x02,0x00,0xff,0x03,0x00,0x07]
// W64-ERR: :[[@LINE-2]]:1: error: instruction requires wavesize=32

v_dual_lshrrev_b32 v255, vcc_lo, v2 :: v_dual_fmac_f32 v7, exec_hi, v3
// GFX1250: v_dual_lshrrev_b32 v255, vcc_lo, v2 :: v_dual_fmac_f32 v7, exec_hi, v3 ; encoding: [0x6a,0x00,0x54,0xcf,0x7f,0x00,0x02,0x00,0xff,0x03,0x00,0x07]
// W64-ERR: :[[@LINE-2]]:1: error: instruction requires wavesize=32

v_dual_lshrrev_b32 v255, src_scc, v2 :: v_dual_fmac_f32 v7, -1, v3
// GFX1250: v_dual_lshrrev_b32 v255, src_scc, v2 :: v_dual_fmac_f32 v7, -1, v3 ; encoding: [0xfd,0x00,0x54,0xcf,0xc1,0x00,0x02,0x00,0xff,0x03,0x00,0x07]
// W64-ERR: :[[@LINE-2]]:1: error: instruction requires wavesize=32

v_dual_lshrrev_b32 v255, 0.5, v3 :: v_dual_fmac_f32 v7, 0.5, v2
// GFX1250: v_dual_lshrrev_b32 v255, 0.5, v3 :: v_dual_fmac_f32 v7, 0.5, v2 ; encoding: [0xf0,0x00,0x54,0xcf,0xf0,0x00,0x03,0x00,0xff,0x02,0x00,0x07]
// W64-ERR: :[[@LINE-2]]:1: error: instruction requires wavesize=32

v_dual_lshrrev_b32 v255, -1, v4 :: v_dual_fmac_f32 v7, src_scc, v5
// GFX1250: v_dual_lshrrev_b32 v255, -1, v4 :: v_dual_fmac_f32 v7, src_scc, v5 ; encoding: [0xc1,0x00,0x54,0xcf,0xfd,0x00,0x04,0x00,0xff,0x05,0x00,0x07]
// W64-ERR: :[[@LINE-2]]:1: error: instruction requires wavesize=32

v_dual_lshrrev_b32 v255, v4, v2 :: v_dual_lshlrev_b32 v7, v1, v3
// GFX1250: v_dual_lshrrev_b32 v255, v4, v2 :: v_dual_lshlrev_b32 v7, v1, v3 ; encoding: [0x04,0x11,0x55,0xcf,0x01,0x01,0x02,0x00,0xff,0x03,0x00,0x07]
// W64-ERR: :[[@LINE-2]]:1: error: instruction requires wavesize=32

v_dual_lshrrev_b32 v255, v1, v2 :: v_dual_lshlrev_b32 v7, v255, v3
// GFX1250: v_dual_lshrrev_b32 v255, v1, v2 :: v_dual_lshlrev_b32 v7, v255, v3 ; encoding: [0x01,0x11,0x55,0xcf,0xff,0x01,0x02,0x00,0xff,0x03,0x00,0x07]
	;; [unrolled: 4-line block ×7, first 2 shown]
// W64-ERR: :[[@LINE-2]]:1: error: instruction requires wavesize=32

v_dual_lshrrev_b32 v255, ttmp15, v2 :: v_dual_lshlrev_b32 v7, vcc_lo, v3
// GFX1250: v_dual_lshrrev_b32 v255, ttmp15, v2 :: v_dual_lshlrev_b32 v7, vcc_lo, v3 ; encoding: [0x7b,0x10,0x55,0xcf,0x6a,0x00,0x02,0x00,0xff,0x03,0x00,0x07]
// W64-ERR: :[[@LINE-2]]:1: error: instruction requires wavesize=32

v_dual_lshrrev_b32 v255, exec_hi, v2 :: v_dual_lshlrev_b32 v7, vcc_hi, v3
// GFX1250: v_dual_lshrrev_b32 v255, exec_hi, v2 :: v_dual_lshlrev_b32 v7, vcc_hi, v3 ; encoding: [0x7f,0x10,0x55,0xcf,0x6b,0x00,0x02,0x00,0xff,0x03,0x00,0x07]
// W64-ERR: :[[@LINE-2]]:1: error: instruction requires wavesize=32

v_dual_lshrrev_b32 v255, exec_lo, v2 :: v_dual_lshlrev_b32 v7, ttmp15, v3
// GFX1250: v_dual_lshrrev_b32 v255, exec_lo, v2 :: v_dual_lshlrev_b32 v7, ttmp15, v3 ; encoding: [0x7e,0x10,0x55,0xcf,0x7b,0x00,0x02,0x00,0xff,0x03,0x00,0x07]
// W64-ERR: :[[@LINE-2]]:1: error: instruction requires wavesize=32

v_dual_lshrrev_b32 v255, m0, v2 :: v_dual_lshlrev_b32 v7, m0, v3
// GFX1250: v_dual_lshrrev_b32 v255, m0, v2 :: v_dual_lshlrev_b32 v7, m0, v3 ; encoding: [0x7d,0x10,0x55,0xcf,0x7d,0x00,0x02,0x00,0xff,0x03,0x00,0x07]
// W64-ERR: :[[@LINE-2]]:1: error: instruction requires wavesize=32

v_dual_lshrrev_b32 v255, vcc_hi, v2 :: v_dual_lshlrev_b32 v7, exec_lo, v3
// GFX1250: v_dual_lshrrev_b32 v255, vcc_hi, v2 :: v_dual_lshlrev_b32 v7, exec_lo, v3 ; encoding: [0x6b,0x10,0x55,0xcf,0x7e,0x00,0x02,0x00,0xff,0x03,0x00,0x07]
// W64-ERR: :[[@LINE-2]]:1: error: instruction requires wavesize=32

v_dual_lshrrev_b32 v255, vcc_lo, v2 :: v_dual_lshlrev_b32 v7, exec_hi, v3
// GFX1250: v_dual_lshrrev_b32 v255, vcc_lo, v2 :: v_dual_lshlrev_b32 v7, exec_hi, v3 ; encoding: [0x6a,0x10,0x55,0xcf,0x7f,0x00,0x02,0x00,0xff,0x03,0x00,0x07]
// W64-ERR: :[[@LINE-2]]:1: error: instruction requires wavesize=32

v_dual_lshrrev_b32 v255, src_scc, v2 :: v_dual_lshlrev_b32 v7, -1, v3
// GFX1250: v_dual_lshrrev_b32 v255, src_scc, v2 :: v_dual_lshlrev_b32 v7, -1, v3 ; encoding: [0xfd,0x10,0x55,0xcf,0xc1,0x00,0x02,0x00,0xff,0x03,0x00,0x07]
// W64-ERR: :[[@LINE-2]]:1: error: instruction requires wavesize=32

v_dual_lshrrev_b32 v255, 0.5, v3 :: v_dual_lshlrev_b32 v7, 0.5, v2
// GFX1250: v_dual_lshrrev_b32 v255, 0.5, v3 :: v_dual_lshlrev_b32 v7, 0.5, v2 ; encoding: [0xf0,0x10,0x55,0xcf,0xf0,0x00,0x03,0x00,0xff,0x02,0x00,0x07]
// W64-ERR: :[[@LINE-2]]:1: error: instruction requires wavesize=32

v_dual_lshrrev_b32 v255, -1, v4 :: v_dual_lshlrev_b32 v7, src_scc, v5
// GFX1250: v_dual_lshrrev_b32 v255, -1, v4 :: v_dual_lshlrev_b32 v7, src_scc, v5 ; encoding: [0xc1,0x10,0x55,0xcf,0xfd,0x00,0x04,0x00,0xff,0x05,0x00,0x07]
// W64-ERR: :[[@LINE-2]]:1: error: instruction requires wavesize=32

v_dual_lshrrev_b32 v255, v4, v2 :: v_dual_max_num_f32 v7, v1, v3
// GFX1250: v_dual_lshrrev_b32 v255, v4, v2 :: v_dual_max_num_f32 v7, v1, v3 ; encoding: [0x04,0xa1,0x54,0xcf,0x01,0x01,0x02,0x00,0xff,0x03,0x00,0x07]
// W64-ERR: :[[@LINE-2]]:1: error: instruction requires wavesize=32

v_dual_lshrrev_b32 v255, v1, v2 :: v_dual_max_num_f32 v7, v255, v3
// GFX1250: v_dual_lshrrev_b32 v255, v1, v2 :: v_dual_max_num_f32 v7, v255, v3 ; encoding: [0x01,0xa1,0x54,0xcf,0xff,0x01,0x02,0x00,0xff,0x03,0x00,0x07]
	;; [unrolled: 4-line block ×7, first 2 shown]
// W64-ERR: :[[@LINE-2]]:1: error: instruction requires wavesize=32

v_dual_lshrrev_b32 v255, ttmp15, v2 :: v_dual_max_num_f32 v7, vcc_lo, v3
// GFX1250: v_dual_lshrrev_b32 v255, ttmp15, v2 :: v_dual_max_num_f32 v7, vcc_lo, v3 ; encoding: [0x7b,0xa0,0x54,0xcf,0x6a,0x00,0x02,0x00,0xff,0x03,0x00,0x07]
// W64-ERR: :[[@LINE-2]]:1: error: instruction requires wavesize=32

v_dual_lshrrev_b32 v255, exec_hi, v2 :: v_dual_max_num_f32 v7, vcc_hi, v3
// GFX1250: v_dual_lshrrev_b32 v255, exec_hi, v2 :: v_dual_max_num_f32 v7, vcc_hi, v3 ; encoding: [0x7f,0xa0,0x54,0xcf,0x6b,0x00,0x02,0x00,0xff,0x03,0x00,0x07]
// W64-ERR: :[[@LINE-2]]:1: error: instruction requires wavesize=32

v_dual_lshrrev_b32 v255, exec_lo, v2 :: v_dual_max_num_f32 v7, ttmp15, v3
// GFX1250: v_dual_lshrrev_b32 v255, exec_lo, v2 :: v_dual_max_num_f32 v7, ttmp15, v3 ; encoding: [0x7e,0xa0,0x54,0xcf,0x7b,0x00,0x02,0x00,0xff,0x03,0x00,0x07]
// W64-ERR: :[[@LINE-2]]:1: error: instruction requires wavesize=32

v_dual_lshrrev_b32 v255, m0, v2 :: v_dual_max_num_f32 v7, m0, v3
// GFX1250: v_dual_lshrrev_b32 v255, m0, v2 :: v_dual_max_num_f32 v7, m0, v3 ; encoding: [0x7d,0xa0,0x54,0xcf,0x7d,0x00,0x02,0x00,0xff,0x03,0x00,0x07]
// W64-ERR: :[[@LINE-2]]:1: error: instruction requires wavesize=32

v_dual_lshrrev_b32 v255, vcc_hi, v2 :: v_dual_max_num_f32 v7, exec_lo, v3
// GFX1250: v_dual_lshrrev_b32 v255, vcc_hi, v2 :: v_dual_max_num_f32 v7, exec_lo, v3 ; encoding: [0x6b,0xa0,0x54,0xcf,0x7e,0x00,0x02,0x00,0xff,0x03,0x00,0x07]
// W64-ERR: :[[@LINE-2]]:1: error: instruction requires wavesize=32

v_dual_lshrrev_b32 v255, vcc_lo, v2 :: v_dual_max_num_f32 v7, exec_hi, v3
// GFX1250: v_dual_lshrrev_b32 v255, vcc_lo, v2 :: v_dual_max_num_f32 v7, exec_hi, v3 ; encoding: [0x6a,0xa0,0x54,0xcf,0x7f,0x00,0x02,0x00,0xff,0x03,0x00,0x07]
// W64-ERR: :[[@LINE-2]]:1: error: instruction requires wavesize=32

v_dual_lshrrev_b32 v255, src_scc, v2 :: v_dual_max_num_f32 v7, -1, v3
// GFX1250: v_dual_lshrrev_b32 v255, src_scc, v2 :: v_dual_max_num_f32 v7, -1, v3 ; encoding: [0xfd,0xa0,0x54,0xcf,0xc1,0x00,0x02,0x00,0xff,0x03,0x00,0x07]
// W64-ERR: :[[@LINE-2]]:1: error: instruction requires wavesize=32

v_dual_lshrrev_b32 v255, 0.5, v3 :: v_dual_max_num_f32 v7, 0.5, v2
// GFX1250: v_dual_lshrrev_b32 v255, 0.5, v3 :: v_dual_max_num_f32 v7, 0.5, v2 ; encoding: [0xf0,0xa0,0x54,0xcf,0xf0,0x00,0x03,0x00,0xff,0x02,0x00,0x07]
// W64-ERR: :[[@LINE-2]]:1: error: instruction requires wavesize=32

v_dual_lshrrev_b32 v255, -1, v4 :: v_dual_max_num_f32 v7, src_scc, v5
// GFX1250: v_dual_lshrrev_b32 v255, -1, v4 :: v_dual_max_num_f32 v7, src_scc, v5 ; encoding: [0xc1,0xa0,0x54,0xcf,0xfd,0x00,0x04,0x00,0xff,0x05,0x00,0x07]
// W64-ERR: :[[@LINE-2]]:1: error: instruction requires wavesize=32

v_dual_lshrrev_b32 v255, v4, v2 :: v_dual_min_num_f32 v7, v1, v3
// GFX1250: v_dual_lshrrev_b32 v255, v4, v2 :: v_dual_min_num_f32 v7, v1, v3 ; encoding: [0x04,0xb1,0x54,0xcf,0x01,0x01,0x02,0x00,0xff,0x03,0x00,0x07]
// W64-ERR: :[[@LINE-2]]:1: error: instruction requires wavesize=32

v_dual_lshrrev_b32 v255, v1, v2 :: v_dual_min_num_f32 v7, v255, v3
// GFX1250: v_dual_lshrrev_b32 v255, v1, v2 :: v_dual_min_num_f32 v7, v255, v3 ; encoding: [0x01,0xb1,0x54,0xcf,0xff,0x01,0x02,0x00,0xff,0x03,0x00,0x07]
	;; [unrolled: 4-line block ×7, first 2 shown]
// W64-ERR: :[[@LINE-2]]:1: error: instruction requires wavesize=32

v_dual_lshrrev_b32 v255, ttmp15, v2 :: v_dual_min_num_f32 v7, vcc_lo, v3
// GFX1250: v_dual_lshrrev_b32 v255, ttmp15, v2 :: v_dual_min_num_f32 v7, vcc_lo, v3 ; encoding: [0x7b,0xb0,0x54,0xcf,0x6a,0x00,0x02,0x00,0xff,0x03,0x00,0x07]
// W64-ERR: :[[@LINE-2]]:1: error: instruction requires wavesize=32

v_dual_lshrrev_b32 v255, exec_hi, v2 :: v_dual_min_num_f32 v7, vcc_hi, v3
// GFX1250: v_dual_lshrrev_b32 v255, exec_hi, v2 :: v_dual_min_num_f32 v7, vcc_hi, v3 ; encoding: [0x7f,0xb0,0x54,0xcf,0x6b,0x00,0x02,0x00,0xff,0x03,0x00,0x07]
// W64-ERR: :[[@LINE-2]]:1: error: instruction requires wavesize=32

v_dual_lshrrev_b32 v255, exec_lo, v2 :: v_dual_min_num_f32 v7, ttmp15, v3
// GFX1250: v_dual_lshrrev_b32 v255, exec_lo, v2 :: v_dual_min_num_f32 v7, ttmp15, v3 ; encoding: [0x7e,0xb0,0x54,0xcf,0x7b,0x00,0x02,0x00,0xff,0x03,0x00,0x07]
// W64-ERR: :[[@LINE-2]]:1: error: instruction requires wavesize=32

v_dual_lshrrev_b32 v255, m0, v2 :: v_dual_min_num_f32 v7, m0, v3
// GFX1250: v_dual_lshrrev_b32 v255, m0, v2 :: v_dual_min_num_f32 v7, m0, v3 ; encoding: [0x7d,0xb0,0x54,0xcf,0x7d,0x00,0x02,0x00,0xff,0x03,0x00,0x07]
// W64-ERR: :[[@LINE-2]]:1: error: instruction requires wavesize=32

v_dual_lshrrev_b32 v255, vcc_hi, v2 :: v_dual_min_num_f32 v7, exec_lo, v3
// GFX1250: v_dual_lshrrev_b32 v255, vcc_hi, v2 :: v_dual_min_num_f32 v7, exec_lo, v3 ; encoding: [0x6b,0xb0,0x54,0xcf,0x7e,0x00,0x02,0x00,0xff,0x03,0x00,0x07]
// W64-ERR: :[[@LINE-2]]:1: error: instruction requires wavesize=32

v_dual_lshrrev_b32 v255, vcc_lo, v2 :: v_dual_min_num_f32 v7, exec_hi, v3
// GFX1250: v_dual_lshrrev_b32 v255, vcc_lo, v2 :: v_dual_min_num_f32 v7, exec_hi, v3 ; encoding: [0x6a,0xb0,0x54,0xcf,0x7f,0x00,0x02,0x00,0xff,0x03,0x00,0x07]
// W64-ERR: :[[@LINE-2]]:1: error: instruction requires wavesize=32

v_dual_lshrrev_b32 v255, src_scc, v2 :: v_dual_min_num_f32 v7, -1, v3
// GFX1250: v_dual_lshrrev_b32 v255, src_scc, v2 :: v_dual_min_num_f32 v7, -1, v3 ; encoding: [0xfd,0xb0,0x54,0xcf,0xc1,0x00,0x02,0x00,0xff,0x03,0x00,0x07]
// W64-ERR: :[[@LINE-2]]:1: error: instruction requires wavesize=32

v_dual_lshrrev_b32 v255, 0.5, v3 :: v_dual_min_num_f32 v7, 0.5, v2
// GFX1250: v_dual_lshrrev_b32 v255, 0.5, v3 :: v_dual_min_num_f32 v7, 0.5, v2 ; encoding: [0xf0,0xb0,0x54,0xcf,0xf0,0x00,0x03,0x00,0xff,0x02,0x00,0x07]
// W64-ERR: :[[@LINE-2]]:1: error: instruction requires wavesize=32

v_dual_lshrrev_b32 v255, -1, v4 :: v_dual_min_num_f32 v7, src_scc, v5
// GFX1250: v_dual_lshrrev_b32 v255, -1, v4 :: v_dual_min_num_f32 v7, src_scc, v5 ; encoding: [0xc1,0xb0,0x54,0xcf,0xfd,0x00,0x04,0x00,0xff,0x05,0x00,0x07]
// W64-ERR: :[[@LINE-2]]:1: error: instruction requires wavesize=32

v_dual_lshrrev_b32 v255, v4, v255 :: v_dual_mov_b32 v7, v1
// GFX1250: v_dual_lshrrev_b32 v255, v4, v255 :: v_dual_mov_b32 v7, v1 ; encoding: [0x04,0x81,0x54,0xcf,0x01,0x01,0xff,0x00,0xff,0x00,0x00,0x07]
// W64-ERR: :[[@LINE-2]]:1: error: instruction requires wavesize=32

v_dual_lshrrev_b32 v255, v1, v255 :: v_dual_mov_b32 v7, v255
// GFX1250: v_dual_lshrrev_b32 v255, v1, v255 :: v_dual_mov_b32 v7, v255 ; encoding: [0x01,0x81,0x54,0xcf,0xff,0x01,0xff,0x00,0xff,0x00,0x00,0x07]
	;; [unrolled: 4-line block ×7, first 2 shown]
// W64-ERR: :[[@LINE-2]]:1: error: instruction requires wavesize=32

v_dual_lshrrev_b32 v255, ttmp15, v255 :: v_dual_mov_b32 v7, vcc_lo
// GFX1250: v_dual_lshrrev_b32 v255, ttmp15, v255 :: v_dual_mov_b32 v7, vcc_lo ; encoding: [0x7b,0x80,0x54,0xcf,0x6a,0x00,0xff,0x00,0xff,0x00,0x00,0x07]
// W64-ERR: :[[@LINE-2]]:1: error: instruction requires wavesize=32

v_dual_lshrrev_b32 v255, exec_hi, v255 :: v_dual_mov_b32 v7, vcc_hi
// GFX1250: v_dual_lshrrev_b32 v255, exec_hi, v255 :: v_dual_mov_b32 v7, vcc_hi ; encoding: [0x7f,0x80,0x54,0xcf,0x6b,0x00,0xff,0x00,0xff,0x00,0x00,0x07]
// W64-ERR: :[[@LINE-2]]:1: error: instruction requires wavesize=32

v_dual_lshrrev_b32 v255, exec_lo, v255 :: v_dual_mov_b32 v7, ttmp15
// GFX1250: v_dual_lshrrev_b32 v255, exec_lo, v255 :: v_dual_mov_b32 v7, ttmp15 ; encoding: [0x7e,0x80,0x54,0xcf,0x7b,0x00,0xff,0x00,0xff,0x00,0x00,0x07]
// W64-ERR: :[[@LINE-2]]:1: error: instruction requires wavesize=32

v_dual_lshrrev_b32 v255, m0, v255 :: v_dual_mov_b32 v7, m0
// GFX1250: v_dual_lshrrev_b32 v255, m0, v255 :: v_dual_mov_b32 v7, m0 ; encoding: [0x7d,0x80,0x54,0xcf,0x7d,0x00,0xff,0x00,0xff,0x00,0x00,0x07]
// W64-ERR: :[[@LINE-2]]:1: error: instruction requires wavesize=32

v_dual_lshrrev_b32 v255, vcc_hi, v255 :: v_dual_mov_b32 v7, exec_lo
// GFX1250: v_dual_lshrrev_b32 v255, vcc_hi, v255 :: v_dual_mov_b32 v7, exec_lo ; encoding: [0x6b,0x80,0x54,0xcf,0x7e,0x00,0xff,0x00,0xff,0x00,0x00,0x07]
// W64-ERR: :[[@LINE-2]]:1: error: instruction requires wavesize=32

v_dual_lshrrev_b32 v255, vcc_lo, v255 :: v_dual_mov_b32 v7, exec_hi
// GFX1250: v_dual_lshrrev_b32 v255, vcc_lo, v255 :: v_dual_mov_b32 v7, exec_hi ; encoding: [0x6a,0x80,0x54,0xcf,0x7f,0x00,0xff,0x00,0xff,0x00,0x00,0x07]
// W64-ERR: :[[@LINE-2]]:1: error: instruction requires wavesize=32

v_dual_lshrrev_b32 v255, src_scc, v255 :: v_dual_mov_b32 v7, -1
// GFX1250: v_dual_lshrrev_b32 v255, src_scc, v255 :: v_dual_mov_b32 v7, -1 ; encoding: [0xfd,0x80,0x54,0xcf,0xc1,0x00,0xff,0x00,0xff,0x00,0x00,0x07]
// W64-ERR: :[[@LINE-2]]:1: error: instruction requires wavesize=32

v_dual_lshrrev_b32 v255, 0.5, v3 :: v_dual_mov_b32 v7, 0.5
// GFX1250: v_dual_lshrrev_b32 v255, 0.5, v3 :: v_dual_mov_b32 v7, 0.5 ; encoding: [0xf0,0x80,0x54,0xcf,0xf0,0x00,0x03,0x00,0xff,0x00,0x00,0x07]
// W64-ERR: :[[@LINE-2]]:1: error: instruction requires wavesize=32

v_dual_lshrrev_b32 v255, -1, v4 :: v_dual_mov_b32 v7, src_scc
// GFX1250: v_dual_lshrrev_b32 v255, -1, v4 :: v_dual_mov_b32 v7, src_scc ; encoding: [0xc1,0x80,0x54,0xcf,0xfd,0x00,0x04,0x00,0xff,0x00,0x00,0x07]
// W64-ERR: :[[@LINE-2]]:1: error: instruction requires wavesize=32

v_dual_lshrrev_b32 v255, v4, v2 :: v_dual_mul_dx9_zero_f32 v7, v1, v3
// GFX1250: v_dual_lshrrev_b32 v255, v4, v2 :: v_dual_mul_dx9_zero_f32 v7, v1, v3 ; encoding: [0x04,0x71,0x54,0xcf,0x01,0x01,0x02,0x00,0xff,0x03,0x00,0x07]
// W64-ERR: :[[@LINE-2]]:1: error: instruction requires wavesize=32

v_dual_lshrrev_b32 v255, v1, v2 :: v_dual_mul_dx9_zero_f32 v7, v255, v3
// GFX1250: v_dual_lshrrev_b32 v255, v1, v2 :: v_dual_mul_dx9_zero_f32 v7, v255, v3 ; encoding: [0x01,0x71,0x54,0xcf,0xff,0x01,0x02,0x00,0xff,0x03,0x00,0x07]
	;; [unrolled: 4-line block ×7, first 2 shown]
// W64-ERR: :[[@LINE-2]]:1: error: instruction requires wavesize=32

v_dual_lshrrev_b32 v255, ttmp15, v2 :: v_dual_mul_dx9_zero_f32 v7, vcc_lo, v3
// GFX1250: v_dual_lshrrev_b32 v255, ttmp15, v2 :: v_dual_mul_dx9_zero_f32 v7, vcc_lo, v3 ; encoding: [0x7b,0x70,0x54,0xcf,0x6a,0x00,0x02,0x00,0xff,0x03,0x00,0x07]
// W64-ERR: :[[@LINE-2]]:1: error: instruction requires wavesize=32

v_dual_lshrrev_b32 v255, exec_hi, v2 :: v_dual_mul_dx9_zero_f32 v7, vcc_hi, v3
// GFX1250: v_dual_lshrrev_b32 v255, exec_hi, v2 :: v_dual_mul_dx9_zero_f32 v7, vcc_hi, v3 ; encoding: [0x7f,0x70,0x54,0xcf,0x6b,0x00,0x02,0x00,0xff,0x03,0x00,0x07]
// W64-ERR: :[[@LINE-2]]:1: error: instruction requires wavesize=32

v_dual_lshrrev_b32 v255, exec_lo, v2 :: v_dual_mul_dx9_zero_f32 v7, ttmp15, v3
// GFX1250: v_dual_lshrrev_b32 v255, exec_lo, v2 :: v_dual_mul_dx9_zero_f32 v7, ttmp15, v3 ; encoding: [0x7e,0x70,0x54,0xcf,0x7b,0x00,0x02,0x00,0xff,0x03,0x00,0x07]
// W64-ERR: :[[@LINE-2]]:1: error: instruction requires wavesize=32

v_dual_lshrrev_b32 v255, m0, v2 :: v_dual_mul_dx9_zero_f32 v7, m0, v3
// GFX1250: v_dual_lshrrev_b32 v255, m0, v2 :: v_dual_mul_dx9_zero_f32 v7, m0, v3 ; encoding: [0x7d,0x70,0x54,0xcf,0x7d,0x00,0x02,0x00,0xff,0x03,0x00,0x07]
// W64-ERR: :[[@LINE-2]]:1: error: instruction requires wavesize=32

v_dual_lshrrev_b32 v255, vcc_hi, v2 :: v_dual_mul_dx9_zero_f32 v7, exec_lo, v3
// GFX1250: v_dual_lshrrev_b32 v255, vcc_hi, v2 :: v_dual_mul_dx9_zero_f32 v7, exec_lo, v3 ; encoding: [0x6b,0x70,0x54,0xcf,0x7e,0x00,0x02,0x00,0xff,0x03,0x00,0x07]
// W64-ERR: :[[@LINE-2]]:1: error: instruction requires wavesize=32

v_dual_lshrrev_b32 v255, vcc_lo, v2 :: v_dual_mul_dx9_zero_f32 v7, exec_hi, v3
// GFX1250: v_dual_lshrrev_b32 v255, vcc_lo, v2 :: v_dual_mul_dx9_zero_f32 v7, exec_hi, v3 ; encoding: [0x6a,0x70,0x54,0xcf,0x7f,0x00,0x02,0x00,0xff,0x03,0x00,0x07]
// W64-ERR: :[[@LINE-2]]:1: error: instruction requires wavesize=32

v_dual_lshrrev_b32 v255, src_scc, v2 :: v_dual_mul_dx9_zero_f32 v7, -1, v3
// GFX1250: v_dual_lshrrev_b32 v255, src_scc, v2 :: v_dual_mul_dx9_zero_f32 v7, -1, v3 ; encoding: [0xfd,0x70,0x54,0xcf,0xc1,0x00,0x02,0x00,0xff,0x03,0x00,0x07]
// W64-ERR: :[[@LINE-2]]:1: error: instruction requires wavesize=32

v_dual_lshrrev_b32 v255, 0.5, v3 :: v_dual_mul_dx9_zero_f32 v7, 0.5, v2
// GFX1250: v_dual_lshrrev_b32 v255, 0.5, v3 :: v_dual_mul_dx9_zero_f32 v7, 0.5, v2 ; encoding: [0xf0,0x70,0x54,0xcf,0xf0,0x00,0x03,0x00,0xff,0x02,0x00,0x07]
// W64-ERR: :[[@LINE-2]]:1: error: instruction requires wavesize=32

v_dual_lshrrev_b32 v255, -1, v4 :: v_dual_mul_dx9_zero_f32 v7, src_scc, v5
// GFX1250: v_dual_lshrrev_b32 v255, -1, v4 :: v_dual_mul_dx9_zero_f32 v7, src_scc, v5 ; encoding: [0xc1,0x70,0x54,0xcf,0xfd,0x00,0x04,0x00,0xff,0x05,0x00,0x07]
// W64-ERR: :[[@LINE-2]]:1: error: instruction requires wavesize=32

v_dual_lshrrev_b32 v255, v4, v2 :: v_dual_mul_f32 v7, v1, v3
// GFX1250: v_dual_lshrrev_b32 v255, v4, v2 :: v_dual_mul_f32 v7, v1, v3 ; encoding: [0x04,0x31,0x54,0xcf,0x01,0x01,0x02,0x00,0xff,0x03,0x00,0x07]
// W64-ERR: :[[@LINE-2]]:1: error: instruction requires wavesize=32

v_dual_lshrrev_b32 v255, v1, v2 :: v_dual_mul_f32 v7, v255, v3
// GFX1250: v_dual_lshrrev_b32 v255, v1, v2 :: v_dual_mul_f32 v7, v255, v3 ; encoding: [0x01,0x31,0x54,0xcf,0xff,0x01,0x02,0x00,0xff,0x03,0x00,0x07]
	;; [unrolled: 4-line block ×7, first 2 shown]
// W64-ERR: :[[@LINE-2]]:1: error: instruction requires wavesize=32

v_dual_lshrrev_b32 v255, ttmp15, v2 :: v_dual_mul_f32 v7, vcc_lo, v3
// GFX1250: v_dual_lshrrev_b32 v255, ttmp15, v2 :: v_dual_mul_f32 v7, vcc_lo, v3 ; encoding: [0x7b,0x30,0x54,0xcf,0x6a,0x00,0x02,0x00,0xff,0x03,0x00,0x07]
// W64-ERR: :[[@LINE-2]]:1: error: instruction requires wavesize=32

v_dual_lshrrev_b32 v255, exec_hi, v2 :: v_dual_mul_f32 v7, vcc_hi, v3
// GFX1250: v_dual_lshrrev_b32 v255, exec_hi, v2 :: v_dual_mul_f32 v7, vcc_hi, v3 ; encoding: [0x7f,0x30,0x54,0xcf,0x6b,0x00,0x02,0x00,0xff,0x03,0x00,0x07]
// W64-ERR: :[[@LINE-2]]:1: error: instruction requires wavesize=32

v_dual_lshrrev_b32 v255, exec_lo, v2 :: v_dual_mul_f32 v7, ttmp15, v3
// GFX1250: v_dual_lshrrev_b32 v255, exec_lo, v2 :: v_dual_mul_f32 v7, ttmp15, v3 ; encoding: [0x7e,0x30,0x54,0xcf,0x7b,0x00,0x02,0x00,0xff,0x03,0x00,0x07]
// W64-ERR: :[[@LINE-2]]:1: error: instruction requires wavesize=32

v_dual_lshrrev_b32 v255, m0, v2 :: v_dual_mul_f32 v7, m0, v3
// GFX1250: v_dual_lshrrev_b32 v255, m0, v2 :: v_dual_mul_f32 v7, m0, v3 ; encoding: [0x7d,0x30,0x54,0xcf,0x7d,0x00,0x02,0x00,0xff,0x03,0x00,0x07]
// W64-ERR: :[[@LINE-2]]:1: error: instruction requires wavesize=32

v_dual_lshrrev_b32 v255, vcc_hi, v2 :: v_dual_mul_f32 v7, exec_lo, v3
// GFX1250: v_dual_lshrrev_b32 v255, vcc_hi, v2 :: v_dual_mul_f32 v7, exec_lo, v3 ; encoding: [0x6b,0x30,0x54,0xcf,0x7e,0x00,0x02,0x00,0xff,0x03,0x00,0x07]
// W64-ERR: :[[@LINE-2]]:1: error: instruction requires wavesize=32

v_dual_lshrrev_b32 v255, vcc_lo, v2 :: v_dual_mul_f32 v7, exec_hi, v3
// GFX1250: v_dual_lshrrev_b32 v255, vcc_lo, v2 :: v_dual_mul_f32 v7, exec_hi, v3 ; encoding: [0x6a,0x30,0x54,0xcf,0x7f,0x00,0x02,0x00,0xff,0x03,0x00,0x07]
// W64-ERR: :[[@LINE-2]]:1: error: instruction requires wavesize=32

v_dual_lshrrev_b32 v255, src_scc, v2 :: v_dual_mul_f32 v7, -1, v3
// GFX1250: v_dual_lshrrev_b32 v255, src_scc, v2 :: v_dual_mul_f32 v7, -1, v3 ; encoding: [0xfd,0x30,0x54,0xcf,0xc1,0x00,0x02,0x00,0xff,0x03,0x00,0x07]
// W64-ERR: :[[@LINE-2]]:1: error: instruction requires wavesize=32

v_dual_lshrrev_b32 v255, 0.5, v3 :: v_dual_mul_f32 v7, 0.5, v2
// GFX1250: v_dual_lshrrev_b32 v255, 0.5, v3 :: v_dual_mul_f32 v7, 0.5, v2 ; encoding: [0xf0,0x30,0x54,0xcf,0xf0,0x00,0x03,0x00,0xff,0x02,0x00,0x07]
// W64-ERR: :[[@LINE-2]]:1: error: instruction requires wavesize=32

v_dual_lshrrev_b32 v255, -1, v4 :: v_dual_mul_f32 v7, src_scc, v5
// GFX1250: v_dual_lshrrev_b32 v255, -1, v4 :: v_dual_mul_f32 v7, src_scc, v5 ; encoding: [0xc1,0x30,0x54,0xcf,0xfd,0x00,0x04,0x00,0xff,0x05,0x00,0x07]
// W64-ERR: :[[@LINE-2]]:1: error: instruction requires wavesize=32

v_dual_lshrrev_b32 v255, v4, v2 :: v_dual_sub_f32 v7, v1, v3
// GFX1250: v_dual_lshrrev_b32 v255, v4, v2 :: v_dual_sub_f32 v7, v1, v3 ; encoding: [0x04,0x51,0x54,0xcf,0x01,0x01,0x02,0x00,0xff,0x03,0x00,0x07]
// W64-ERR: :[[@LINE-2]]:1: error: instruction requires wavesize=32

v_dual_lshrrev_b32 v255, v1, v2 :: v_dual_sub_f32 v7, v255, v3
// GFX1250: v_dual_lshrrev_b32 v255, v1, v2 :: v_dual_sub_f32 v7, v255, v3 ; encoding: [0x01,0x51,0x54,0xcf,0xff,0x01,0x02,0x00,0xff,0x03,0x00,0x07]
	;; [unrolled: 4-line block ×7, first 2 shown]
// W64-ERR: :[[@LINE-2]]:1: error: instruction requires wavesize=32

v_dual_lshrrev_b32 v255, ttmp15, v2 :: v_dual_sub_f32 v7, vcc_lo, v3
// GFX1250: v_dual_lshrrev_b32 v255, ttmp15, v2 :: v_dual_sub_f32 v7, vcc_lo, v3 ; encoding: [0x7b,0x50,0x54,0xcf,0x6a,0x00,0x02,0x00,0xff,0x03,0x00,0x07]
// W64-ERR: :[[@LINE-2]]:1: error: instruction requires wavesize=32

v_dual_lshrrev_b32 v255, exec_hi, v2 :: v_dual_sub_f32 v7, vcc_hi, v3
// GFX1250: v_dual_lshrrev_b32 v255, exec_hi, v2 :: v_dual_sub_f32 v7, vcc_hi, v3 ; encoding: [0x7f,0x50,0x54,0xcf,0x6b,0x00,0x02,0x00,0xff,0x03,0x00,0x07]
// W64-ERR: :[[@LINE-2]]:1: error: instruction requires wavesize=32

v_dual_lshrrev_b32 v255, exec_lo, v2 :: v_dual_sub_f32 v7, ttmp15, v3
// GFX1250: v_dual_lshrrev_b32 v255, exec_lo, v2 :: v_dual_sub_f32 v7, ttmp15, v3 ; encoding: [0x7e,0x50,0x54,0xcf,0x7b,0x00,0x02,0x00,0xff,0x03,0x00,0x07]
// W64-ERR: :[[@LINE-2]]:1: error: instruction requires wavesize=32

v_dual_lshrrev_b32 v255, m0, v2 :: v_dual_sub_f32 v7, m0, v3
// GFX1250: v_dual_lshrrev_b32 v255, m0, v2 :: v_dual_sub_f32 v7, m0, v3 ; encoding: [0x7d,0x50,0x54,0xcf,0x7d,0x00,0x02,0x00,0xff,0x03,0x00,0x07]
// W64-ERR: :[[@LINE-2]]:1: error: instruction requires wavesize=32

v_dual_lshrrev_b32 v255, vcc_hi, v2 :: v_dual_sub_f32 v7, exec_lo, v3
// GFX1250: v_dual_lshrrev_b32 v255, vcc_hi, v2 :: v_dual_sub_f32 v7, exec_lo, v3 ; encoding: [0x6b,0x50,0x54,0xcf,0x7e,0x00,0x02,0x00,0xff,0x03,0x00,0x07]
// W64-ERR: :[[@LINE-2]]:1: error: instruction requires wavesize=32

v_dual_lshrrev_b32 v255, vcc_lo, v2 :: v_dual_sub_f32 v7, exec_hi, v3
// GFX1250: v_dual_lshrrev_b32 v255, vcc_lo, v2 :: v_dual_sub_f32 v7, exec_hi, v3 ; encoding: [0x6a,0x50,0x54,0xcf,0x7f,0x00,0x02,0x00,0xff,0x03,0x00,0x07]
// W64-ERR: :[[@LINE-2]]:1: error: instruction requires wavesize=32

v_dual_lshrrev_b32 v255, src_scc, v2 :: v_dual_sub_f32 v7, -1, v3
// GFX1250: v_dual_lshrrev_b32 v255, src_scc, v2 :: v_dual_sub_f32 v7, -1, v3 ; encoding: [0xfd,0x50,0x54,0xcf,0xc1,0x00,0x02,0x00,0xff,0x03,0x00,0x07]
// W64-ERR: :[[@LINE-2]]:1: error: instruction requires wavesize=32

v_dual_lshrrev_b32 v255, 0.5, v3 :: v_dual_sub_f32 v7, 0.5, v2
// GFX1250: v_dual_lshrrev_b32 v255, 0.5, v3 :: v_dual_sub_f32 v7, 0.5, v2 ; encoding: [0xf0,0x50,0x54,0xcf,0xf0,0x00,0x03,0x00,0xff,0x02,0x00,0x07]
// W64-ERR: :[[@LINE-2]]:1: error: instruction requires wavesize=32

v_dual_lshrrev_b32 v255, -1, v4 :: v_dual_sub_f32 v7, src_scc, v5
// GFX1250: v_dual_lshrrev_b32 v255, -1, v4 :: v_dual_sub_f32 v7, src_scc, v5 ; encoding: [0xc1,0x50,0x54,0xcf,0xfd,0x00,0x04,0x00,0xff,0x05,0x00,0x07]
// W64-ERR: :[[@LINE-2]]:1: error: instruction requires wavesize=32

v_dual_lshrrev_b32 v255, v4, v2 :: v_dual_subrev_f32 v7, v1, v3
// GFX1250: v_dual_lshrrev_b32 v255, v4, v2 :: v_dual_subrev_f32 v7, v1, v3 ; encoding: [0x04,0x61,0x54,0xcf,0x01,0x01,0x02,0x00,0xff,0x03,0x00,0x07]
// W64-ERR: :[[@LINE-2]]:1: error: instruction requires wavesize=32

v_dual_lshrrev_b32 v255, v1, v2 :: v_dual_subrev_f32 v7, v255, v3
// GFX1250: v_dual_lshrrev_b32 v255, v1, v2 :: v_dual_subrev_f32 v7, v255, v3 ; encoding: [0x01,0x61,0x54,0xcf,0xff,0x01,0x02,0x00,0xff,0x03,0x00,0x07]
	;; [unrolled: 4-line block ×7, first 2 shown]
// W64-ERR: :[[@LINE-2]]:1: error: instruction requires wavesize=32

v_dual_lshrrev_b32 v255, ttmp15, v2 :: v_dual_subrev_f32 v7, vcc_lo, v3
// GFX1250: v_dual_lshrrev_b32 v255, ttmp15, v2 :: v_dual_subrev_f32 v7, vcc_lo, v3 ; encoding: [0x7b,0x60,0x54,0xcf,0x6a,0x00,0x02,0x00,0xff,0x03,0x00,0x07]
// W64-ERR: :[[@LINE-2]]:1: error: instruction requires wavesize=32

v_dual_lshrrev_b32 v255, exec_hi, v2 :: v_dual_subrev_f32 v7, vcc_hi, v3
// GFX1250: v_dual_lshrrev_b32 v255, exec_hi, v2 :: v_dual_subrev_f32 v7, vcc_hi, v3 ; encoding: [0x7f,0x60,0x54,0xcf,0x6b,0x00,0x02,0x00,0xff,0x03,0x00,0x07]
// W64-ERR: :[[@LINE-2]]:1: error: instruction requires wavesize=32

v_dual_lshrrev_b32 v255, exec_lo, v2 :: v_dual_subrev_f32 v7, ttmp15, v3
// GFX1250: v_dual_lshrrev_b32 v255, exec_lo, v2 :: v_dual_subrev_f32 v7, ttmp15, v3 ; encoding: [0x7e,0x60,0x54,0xcf,0x7b,0x00,0x02,0x00,0xff,0x03,0x00,0x07]
// W64-ERR: :[[@LINE-2]]:1: error: instruction requires wavesize=32

v_dual_lshrrev_b32 v255, m0, v2 :: v_dual_subrev_f32 v7, m0, v3
// GFX1250: v_dual_lshrrev_b32 v255, m0, v2 :: v_dual_subrev_f32 v7, m0, v3 ; encoding: [0x7d,0x60,0x54,0xcf,0x7d,0x00,0x02,0x00,0xff,0x03,0x00,0x07]
// W64-ERR: :[[@LINE-2]]:1: error: instruction requires wavesize=32

v_dual_lshrrev_b32 v255, vcc_hi, v2 :: v_dual_subrev_f32 v7, exec_lo, v3
// GFX1250: v_dual_lshrrev_b32 v255, vcc_hi, v2 :: v_dual_subrev_f32 v7, exec_lo, v3 ; encoding: [0x6b,0x60,0x54,0xcf,0x7e,0x00,0x02,0x00,0xff,0x03,0x00,0x07]
// W64-ERR: :[[@LINE-2]]:1: error: instruction requires wavesize=32

v_dual_lshrrev_b32 v255, vcc_lo, v2 :: v_dual_subrev_f32 v7, exec_hi, v3
// GFX1250: v_dual_lshrrev_b32 v255, vcc_lo, v2 :: v_dual_subrev_f32 v7, exec_hi, v3 ; encoding: [0x6a,0x60,0x54,0xcf,0x7f,0x00,0x02,0x00,0xff,0x03,0x00,0x07]
// W64-ERR: :[[@LINE-2]]:1: error: instruction requires wavesize=32

v_dual_lshrrev_b32 v255, src_scc, v2 :: v_dual_subrev_f32 v7, -1, v3
// GFX1250: v_dual_lshrrev_b32 v255, src_scc, v2 :: v_dual_subrev_f32 v7, -1, v3 ; encoding: [0xfd,0x60,0x54,0xcf,0xc1,0x00,0x02,0x00,0xff,0x03,0x00,0x07]
// W64-ERR: :[[@LINE-2]]:1: error: instruction requires wavesize=32

v_dual_lshrrev_b32 v255, 0.5, v3 :: v_dual_subrev_f32 v7, 0.5, v2
// GFX1250: v_dual_lshrrev_b32 v255, 0.5, v3 :: v_dual_subrev_f32 v7, 0.5, v2 ; encoding: [0xf0,0x60,0x54,0xcf,0xf0,0x00,0x03,0x00,0xff,0x02,0x00,0x07]
// W64-ERR: :[[@LINE-2]]:1: error: instruction requires wavesize=32

v_dual_lshrrev_b32 v255, -1, v4 :: v_dual_subrev_f32 v7, src_scc, v5
// GFX1250: v_dual_lshrrev_b32 v255, -1, v4 :: v_dual_subrev_f32 v7, src_scc, v5 ; encoding: [0xc1,0x60,0x54,0xcf,0xfd,0x00,0x04,0x00,0xff,0x05,0x00,0x07]
// W64-ERR: :[[@LINE-2]]:1: error: instruction requires wavesize=32

v_dual_lshrrev_b32 v254, v4, v2 :: v_dual_fma_f32 v7, v1, v3, v4
// GFX1250: v_dual_lshrrev_b32 v254, v4, v2 :: v_dual_fma_f32 v7, v1, v3, v4 ; encoding: [0x04,0x31,0x55,0xcf,0x01,0x01,0x02,0x00,0xfe,0x03,0x04,0x07]
// W64-ERR: :[[@LINE-2]]:1: error: instruction requires wavesize=32

v_dual_lshrrev_b32 v1, v4, v2 :: v_dual_sub_nc_u32 v9, v1, v13
// GFX1250: v_dual_lshrrev_b32 v1, v4, v2 :: v_dual_sub_nc_u32 v9, v1, v13 ; encoding: [0x04,0x41,0x55,0xcf,0x01,0x01,0x02,0x00,0x01,0x0d,0x00,0x09]
// W64-ERR: :[[@LINE-2]]:1: error: instruction requires wavesize=32

v_dual_lshrrev_b32 v1, v4, v2 :: v_dual_lshrrev_b32 v9, v1, v13
// GFX1250: v_dual_lshrrev_b32 v1, v4, v2 :: v_dual_lshrrev_b32 v9, v1, v13 ; encoding: [0x04,0x51,0x55,0xcf,0x01,0x01,0x02,0x00,0x01,0x0d,0x00,0x09]
// W64-ERR: :[[@LINE-2]]:1: error: instruction requires wavesize=32

v_dual_lshrrev_b32 v1, v4, v2 :: v_dual_ashrrev_i32 v9, v1, v13
// GFX1250: v_dual_lshrrev_b32 v1, v4, v2 :: v_dual_ashrrev_i32 v9, v1, v13 ; encoding: [0x04,0x61,0x55,0xcf,0x01,0x01,0x02,0x00,0x01,0x0d,0x00,0x09]
// W64-ERR: :[[@LINE-2]]:1: error: instruction requires wavesize=32

v_dual_lshrrev_b32 v254, v4, v2 :: v_dual_bitop2_b32 v7, v1, v3 bitop3:0x88
// GFX1250: v_dual_lshrrev_b32 v254, v4, v2 :: v_dual_bitop2_b32 v7, v1, v3 bitop3:0x88 ; encoding: [0x04,0x21,0x55,0xcf,0x01,0x01,0x02,0x00,0xfe,0x03,0x88,0x07]
// W64-ERR: :[[@LINE-2]]:1: error: instruction requires wavesize=32

v_dual_fma_f32 v254, v4, v2, v10 :: v_dual_add_f32 v7, v1, v3
// GFX1250: v_dual_fma_f32 v254, v4, v2, v10 :: v_dual_add_f32 v7, v1, v3 ; encoding: [0x04,0x41,0x4c,0xcf,0x01,0x01,0x02,0x0a,0xfe,0x03,0x00,0x07]
// W64-ERR: :[[@LINE-2]]:1: error: instruction requires wavesize=32

v_dual_fma_f32 v255, v1, v2, v10 :: v_dual_add_f32 v7, v255, v3
// GFX1250: v_dual_fma_f32 v255, v1, v2, v10 :: v_dual_add_f32 v7, v255, v3 ; encoding: [0x01,0x41,0x4c,0xcf,0xff,0x01,0x02,0x0a,0xff,0x03,0x00,0x07]
	;; [unrolled: 4-line block ×7, first 2 shown]
// W64-ERR: :[[@LINE-2]]:1: error: instruction requires wavesize=32

v_dual_fma_f32 v255, ttmp15, v2, v10 :: v_dual_add_f32 v7, vcc_lo, v3
// GFX1250: v_dual_fma_f32 v255, ttmp15, v2, v10 :: v_dual_add_f32 v7, vcc_lo, v3 ; encoding: [0x7b,0x40,0x4c,0xcf,0x6a,0x00,0x02,0x0a,0xff,0x03,0x00,0x07]
// W64-ERR: :[[@LINE-2]]:1: error: instruction requires wavesize=32

v_dual_fma_f32 v255, exec_hi, v2, v10 :: v_dual_add_f32 v7, vcc_hi, v3
// GFX1250: v_dual_fma_f32 v255, exec_hi, v2, v10 :: v_dual_add_f32 v7, vcc_hi, v3 ; encoding: [0x7f,0x40,0x4c,0xcf,0x6b,0x00,0x02,0x0a,0xff,0x03,0x00,0x07]
// W64-ERR: :[[@LINE-2]]:1: error: instruction requires wavesize=32

v_dual_fma_f32 v255, exec_lo, v2, v10 :: v_dual_add_f32 v7, ttmp15, v3
// GFX1250: v_dual_fma_f32 v255, exec_lo, v2, v10 :: v_dual_add_f32 v7, ttmp15, v3 ; encoding: [0x7e,0x40,0x4c,0xcf,0x7b,0x00,0x02,0x0a,0xff,0x03,0x00,0x07]
// W64-ERR: :[[@LINE-2]]:1: error: instruction requires wavesize=32

v_dual_fma_f32 v255, m0, v2, v10 :: v_dual_add_f32 v7, m0, v3
// GFX1250: v_dual_fma_f32 v255, m0, v2, v10 :: v_dual_add_f32 v7, m0, v3 ; encoding: [0x7d,0x40,0x4c,0xcf,0x7d,0x00,0x02,0x0a,0xff,0x03,0x00,0x07]
// W64-ERR: :[[@LINE-2]]:1: error: instruction requires wavesize=32

v_dual_fma_f32 v255, vcc_hi, v2, v10 :: v_dual_add_f32 v7, exec_lo, v3
// GFX1250: v_dual_fma_f32 v255, vcc_hi, v2, v10 :: v_dual_add_f32 v7, exec_lo, v3 ; encoding: [0x6b,0x40,0x4c,0xcf,0x7e,0x00,0x02,0x0a,0xff,0x03,0x00,0x07]
// W64-ERR: :[[@LINE-2]]:1: error: instruction requires wavesize=32

v_dual_fma_f32 v255, vcc_lo, v2, v10 :: v_dual_add_f32 v7, exec_hi, v3
// GFX1250: v_dual_fma_f32 v255, vcc_lo, v2, v10 :: v_dual_add_f32 v7, exec_hi, v3 ; encoding: [0x6a,0x40,0x4c,0xcf,0x7f,0x00,0x02,0x0a,0xff,0x03,0x00,0x07]
// W64-ERR: :[[@LINE-2]]:1: error: instruction requires wavesize=32

v_dual_fma_f32 v255, src_scc, v2, v10 :: v_dual_add_f32 v7, -1, v3
// GFX1250: v_dual_fma_f32 v255, src_scc, v2, v10 :: v_dual_add_f32 v7, -1, v3 ; encoding: [0xfd,0x40,0x4c,0xcf,0xc1,0x00,0x02,0x0a,0xff,0x03,0x00,0x07]
// W64-ERR: :[[@LINE-2]]:1: error: instruction requires wavesize=32

v_dual_fma_f32 v255, 0.5, v3, v10 :: v_dual_add_f32 v7, 0.5, v2
// GFX1250: v_dual_fma_f32 v255, 0.5, v3, v10 :: v_dual_add_f32 v7, 0.5, v2 ; encoding: [0xf0,0x40,0x4c,0xcf,0xf0,0x00,0x03,0x0a,0xff,0x02,0x00,0x07]
// W64-ERR: :[[@LINE-2]]:1: error: instruction requires wavesize=32

v_dual_fma_f32 v255, -1, v4, v10 :: v_dual_add_f32 v7, src_scc, v5
// GFX1250: v_dual_fma_f32 v255, -1, v4, v10 :: v_dual_add_f32 v7, src_scc, v5 ; encoding: [0xc1,0x40,0x4c,0xcf,0xfd,0x00,0x04,0x0a,0xff,0x05,0x00,0x07]
// W64-ERR: :[[@LINE-2]]:1: error: instruction requires wavesize=32

v_dual_fma_f32 v255, v4, v2, v10 :: v_dual_add_nc_u32 v7, v1, v3
// GFX1250: v_dual_fma_f32 v255, v4, v2, v10 :: v_dual_add_nc_u32 v7, v1, v3 ; encoding: [0x04,0x01,0x4d,0xcf,0x01,0x01,0x02,0x0a,0xff,0x03,0x00,0x07]
// W64-ERR: :[[@LINE-2]]:1: error: instruction requires wavesize=32

v_dual_fma_f32 v255, v1, v2, v10 :: v_dual_add_nc_u32 v7, v255, v3
// GFX1250: v_dual_fma_f32 v255, v1, v2, v10 :: v_dual_add_nc_u32 v7, v255, v3 ; encoding: [0x01,0x01,0x4d,0xcf,0xff,0x01,0x02,0x0a,0xff,0x03,0x00,0x07]
	;; [unrolled: 4-line block ×7, first 2 shown]
// W64-ERR: :[[@LINE-2]]:1: error: instruction requires wavesize=32

v_dual_fma_f32 v255, ttmp15, v2, v10 :: v_dual_add_nc_u32 v7, vcc_lo, v3
// GFX1250: v_dual_fma_f32 v255, ttmp15, v2, v10 :: v_dual_add_nc_u32 v7, vcc_lo, v3 ; encoding: [0x7b,0x00,0x4d,0xcf,0x6a,0x00,0x02,0x0a,0xff,0x03,0x00,0x07]
// W64-ERR: :[[@LINE-2]]:1: error: instruction requires wavesize=32

v_dual_fma_f32 v255, exec_hi, v2, v10 :: v_dual_add_nc_u32 v7, vcc_hi, v3
// GFX1250: v_dual_fma_f32 v255, exec_hi, v2, v10 :: v_dual_add_nc_u32 v7, vcc_hi, v3 ; encoding: [0x7f,0x00,0x4d,0xcf,0x6b,0x00,0x02,0x0a,0xff,0x03,0x00,0x07]
// W64-ERR: :[[@LINE-2]]:1: error: instruction requires wavesize=32

v_dual_fma_f32 v255, exec_lo, v2, v10 :: v_dual_add_nc_u32 v7, ttmp15, v3
// GFX1250: v_dual_fma_f32 v255, exec_lo, v2, v10 :: v_dual_add_nc_u32 v7, ttmp15, v3 ; encoding: [0x7e,0x00,0x4d,0xcf,0x7b,0x00,0x02,0x0a,0xff,0x03,0x00,0x07]
// W64-ERR: :[[@LINE-2]]:1: error: instruction requires wavesize=32

v_dual_fma_f32 v255, m0, v2, v10 :: v_dual_add_nc_u32 v7, m0, v3
// GFX1250: v_dual_fma_f32 v255, m0, v2, v10 :: v_dual_add_nc_u32 v7, m0, v3 ; encoding: [0x7d,0x00,0x4d,0xcf,0x7d,0x00,0x02,0x0a,0xff,0x03,0x00,0x07]
// W64-ERR: :[[@LINE-2]]:1: error: instruction requires wavesize=32

v_dual_fma_f32 v255, vcc_hi, v2, v10 :: v_dual_add_nc_u32 v7, exec_lo, v3
// GFX1250: v_dual_fma_f32 v255, vcc_hi, v2, v10 :: v_dual_add_nc_u32 v7, exec_lo, v3 ; encoding: [0x6b,0x00,0x4d,0xcf,0x7e,0x00,0x02,0x0a,0xff,0x03,0x00,0x07]
// W64-ERR: :[[@LINE-2]]:1: error: instruction requires wavesize=32

v_dual_fma_f32 v255, vcc_lo, v2, v10 :: v_dual_add_nc_u32 v7, exec_hi, v3
// GFX1250: v_dual_fma_f32 v255, vcc_lo, v2, v10 :: v_dual_add_nc_u32 v7, exec_hi, v3 ; encoding: [0x6a,0x00,0x4d,0xcf,0x7f,0x00,0x02,0x0a,0xff,0x03,0x00,0x07]
// W64-ERR: :[[@LINE-2]]:1: error: instruction requires wavesize=32

v_dual_fma_f32 v255, src_scc, v2, v10 :: v_dual_add_nc_u32 v7, -1, v3
// GFX1250: v_dual_fma_f32 v255, src_scc, v2, v10 :: v_dual_add_nc_u32 v7, -1, v3 ; encoding: [0xfd,0x00,0x4d,0xcf,0xc1,0x00,0x02,0x0a,0xff,0x03,0x00,0x07]
// W64-ERR: :[[@LINE-2]]:1: error: instruction requires wavesize=32

v_dual_fma_f32 v255, 0.5, v3, v10 :: v_dual_add_nc_u32 v7, 0.5, v2
// GFX1250: v_dual_fma_f32 v255, 0.5, v3, v10 :: v_dual_add_nc_u32 v7, 0.5, v2 ; encoding: [0xf0,0x00,0x4d,0xcf,0xf0,0x00,0x03,0x0a,0xff,0x02,0x00,0x07]
// W64-ERR: :[[@LINE-2]]:1: error: instruction requires wavesize=32

v_dual_fma_f32 v255, -1, v4, v10 :: v_dual_add_nc_u32 v7, src_scc, v5
// GFX1250: v_dual_fma_f32 v255, -1, v4, v10 :: v_dual_add_nc_u32 v7, src_scc, v5 ; encoding: [0xc1,0x00,0x4d,0xcf,0xfd,0x00,0x04,0x0a,0xff,0x05,0x00,0x07]
// W64-ERR: :[[@LINE-2]]:1: error: instruction requires wavesize=32

v_dual_fma_f32 v255, v4, v2, v10 :: v_dual_cndmask_b32 v7, v1, v3, vcc_lo
// GFX1250: v_dual_fma_f32 v255, v4, v2, v10 :: v_dual_cndmask_b32 v7, v1, v3, vcc_lo ; encoding: [0x04,0x91,0x4c,0xcf,0x01,0x01,0x02,0x0a,0xff,0x03,0x6a,0x07]
// W64-ERR: :[[@LINE-2]]:1: error: instruction requires wavesize=32

v_dual_fma_f32 v255, v1, v2, v10 :: v_dual_cndmask_b32 v7, v255, v3, vcc_lo
// GFX1250: v_dual_fma_f32 v255, v1, v2, v10 :: v_dual_cndmask_b32 v7, v255, v3, vcc_lo ; encoding: [0x01,0x91,0x4c,0xcf,0xff,0x01,0x02,0x0a,0xff,0x03,0x6a,0x07]
	;; [unrolled: 4-line block ×7, first 2 shown]
// W64-ERR: :[[@LINE-2]]:1: error: instruction requires wavesize=32

v_dual_fma_f32 v255, ttmp15, v2, v10 :: v_dual_cndmask_b32 v7, ttmp15, v3, vcc_lo
// GFX1250: v_dual_fma_f32 v255, ttmp15, v2, v10 :: v_dual_cndmask_b32 v7, ttmp15, v3, vcc_lo ; encoding: [0x7b,0x90,0x4c,0xcf,0x7b,0x00,0x02,0x0a,0xff,0x03,0x6a,0x07]
// W64-ERR: :[[@LINE-2]]:1: error: instruction requires wavesize=32

v_dual_fma_f32 v255, exec_hi, v2, v10 :: v_dual_cndmask_b32 v7, exec_hi, v3, vcc_lo
// GFX1250: v_dual_fma_f32 v255, exec_hi, v2, v10 :: v_dual_cndmask_b32 v7, exec_hi, v3, vcc_lo ; encoding: [0x7f,0x90,0x4c,0xcf,0x7f,0x00,0x02,0x0a,0xff,0x03,0x6a,0x07]
// W64-ERR: :[[@LINE-2]]:1: error: instruction requires wavesize=32

v_dual_fma_f32 v255, exec_lo, v2, v10 :: v_dual_cndmask_b32 v7, exec_lo, v3, vcc_lo
// GFX1250: v_dual_fma_f32 v255, exec_lo, v2, v10 :: v_dual_cndmask_b32 v7, exec_lo, v3, vcc_lo ; encoding: [0x7e,0x90,0x4c,0xcf,0x7e,0x00,0x02,0x0a,0xff,0x03,0x6a,0x07]
// W64-ERR: :[[@LINE-2]]:1: error: instruction requires wavesize=32

v_dual_fma_f32 v255, m0, v2, v10 :: v_dual_cndmask_b32 v7, m0, v3, vcc_lo
// GFX1250: v_dual_fma_f32 v255, m0, v2, v10 :: v_dual_cndmask_b32 v7, m0, v3, vcc_lo ; encoding: [0x7d,0x90,0x4c,0xcf,0x7d,0x00,0x02,0x0a,0xff,0x03,0x6a,0x07]
// W64-ERR: :[[@LINE-2]]:1: error: instruction requires wavesize=32

v_dual_fma_f32 v255, vcc_hi, v2, v10 :: v_dual_cndmask_b32 v7, vcc_hi, v3, vcc_lo
// GFX1250: v_dual_fma_f32 v255, vcc_hi, v2, v10 :: v_dual_cndmask_b32 v7, vcc_hi, v3, vcc_lo ; encoding: [0x6b,0x90,0x4c,0xcf,0x6b,0x00,0x02,0x0a,0xff,0x03,0x6a,0x07]
// W64-ERR: :[[@LINE-2]]:1: error: instruction requires wavesize=32

v_dual_fma_f32 v255, vcc_lo, v2, v10 :: v_dual_cndmask_b32 v7, vcc_lo, v3, vcc_lo
// GFX1250: v_dual_fma_f32 v255, vcc_lo, v2, v10 :: v_dual_cndmask_b32 v7, vcc_lo, v3, vcc_lo ; encoding: [0x6a,0x90,0x4c,0xcf,0x6a,0x00,0x02,0x0a,0xff,0x03,0x6a,0x07]
// W64-ERR: :[[@LINE-2]]:1: error: instruction requires wavesize=32

v_dual_fma_f32 v255, src_scc, v2, v10 :: v_dual_cndmask_b32 v7, -1, v3, vcc_lo
// GFX1250: v_dual_fma_f32 v255, src_scc, v2, v10 :: v_dual_cndmask_b32 v7, -1, v3, vcc_lo ; encoding: [0xfd,0x90,0x4c,0xcf,0xc1,0x00,0x02,0x0a,0xff,0x03,0x6a,0x07]
// W64-ERR: :[[@LINE-2]]:1: error: instruction requires wavesize=32

v_dual_fma_f32 v255, 0.5, v3, v10 :: v_dual_cndmask_b32 v7, 0.5, v2, vcc_lo
// GFX1250: v_dual_fma_f32 v255, 0.5, v3, v10 :: v_dual_cndmask_b32 v7, 0.5, v2, vcc_lo ; encoding: [0xf0,0x90,0x4c,0xcf,0xf0,0x00,0x03,0x0a,0xff,0x02,0x6a,0x07]
// W64-ERR: :[[@LINE-2]]:1: error: instruction requires wavesize=32

v_dual_fma_f32 v255, -1, v4, v10 :: v_dual_cndmask_b32 v7, src_scc, v5, vcc_lo
// GFX1250: v_dual_fma_f32 v255, -1, v4, v10 :: v_dual_cndmask_b32 v7, src_scc, v5, vcc_lo ; encoding: [0xc1,0x90,0x4c,0xcf,0xfd,0x00,0x04,0x0a,0xff,0x05,0x6a,0x07]
// W64-ERR: :[[@LINE-2]]:1: error: instruction requires wavesize=32

v_dual_fma_f32 v255, v4, v2, v10 :: v_dual_fmac_f32 v7, v1, v3
// GFX1250: v_dual_fma_f32 v255, v4, v2, v10 :: v_dual_fmac_f32 v7, v1, v3 ; encoding: [0x04,0x01,0x4c,0xcf,0x01,0x01,0x02,0x0a,0xff,0x03,0x00,0x07]
// W64-ERR: :[[@LINE-2]]:1: error: instruction requires wavesize=32

v_dual_fma_f32 v255, v1, v2, v10 :: v_dual_fmac_f32 v7, v255, v3
// GFX1250: v_dual_fma_f32 v255, v1, v2, v10 :: v_dual_fmac_f32 v7, v255, v3 ; encoding: [0x01,0x01,0x4c,0xcf,0xff,0x01,0x02,0x0a,0xff,0x03,0x00,0x07]
	;; [unrolled: 4-line block ×7, first 2 shown]
// W64-ERR: :[[@LINE-2]]:1: error: instruction requires wavesize=32

v_dual_fma_f32 v255, ttmp15, v2, v10 :: v_dual_fmac_f32 v7, vcc_lo, v3
// GFX1250: v_dual_fma_f32 v255, ttmp15, v2, v10 :: v_dual_fmac_f32 v7, vcc_lo, v3 ; encoding: [0x7b,0x00,0x4c,0xcf,0x6a,0x00,0x02,0x0a,0xff,0x03,0x00,0x07]
// W64-ERR: :[[@LINE-2]]:1: error: instruction requires wavesize=32

v_dual_fma_f32 v255, exec_hi, v2, v10 :: v_dual_fmac_f32 v7, vcc_hi, v3
// GFX1250: v_dual_fma_f32 v255, exec_hi, v2, v10 :: v_dual_fmac_f32 v7, vcc_hi, v3 ; encoding: [0x7f,0x00,0x4c,0xcf,0x6b,0x00,0x02,0x0a,0xff,0x03,0x00,0x07]
// W64-ERR: :[[@LINE-2]]:1: error: instruction requires wavesize=32

v_dual_fma_f32 v255, exec_lo, v2, v10 :: v_dual_fmac_f32 v7, ttmp15, v3
// GFX1250: v_dual_fma_f32 v255, exec_lo, v2, v10 :: v_dual_fmac_f32 v7, ttmp15, v3 ; encoding: [0x7e,0x00,0x4c,0xcf,0x7b,0x00,0x02,0x0a,0xff,0x03,0x00,0x07]
// W64-ERR: :[[@LINE-2]]:1: error: instruction requires wavesize=32

v_dual_fma_f32 v255, m0, v2, v10 :: v_dual_fmac_f32 v7, m0, v3
// GFX1250: v_dual_fma_f32 v255, m0, v2, v10 :: v_dual_fmac_f32 v7, m0, v3 ; encoding: [0x7d,0x00,0x4c,0xcf,0x7d,0x00,0x02,0x0a,0xff,0x03,0x00,0x07]
// W64-ERR: :[[@LINE-2]]:1: error: instruction requires wavesize=32

v_dual_fma_f32 v255, vcc_hi, v2, v10 :: v_dual_fmac_f32 v7, exec_lo, v3
// GFX1250: v_dual_fma_f32 v255, vcc_hi, v2, v10 :: v_dual_fmac_f32 v7, exec_lo, v3 ; encoding: [0x6b,0x00,0x4c,0xcf,0x7e,0x00,0x02,0x0a,0xff,0x03,0x00,0x07]
// W64-ERR: :[[@LINE-2]]:1: error: instruction requires wavesize=32

v_dual_fma_f32 v255, vcc_lo, v2, v10 :: v_dual_fmac_f32 v7, exec_hi, v3
// GFX1250: v_dual_fma_f32 v255, vcc_lo, v2, v10 :: v_dual_fmac_f32 v7, exec_hi, v3 ; encoding: [0x6a,0x00,0x4c,0xcf,0x7f,0x00,0x02,0x0a,0xff,0x03,0x00,0x07]
// W64-ERR: :[[@LINE-2]]:1: error: instruction requires wavesize=32

v_dual_fma_f32 v255, src_scc, v2, v10 :: v_dual_fmac_f32 v7, -1, v3
// GFX1250: v_dual_fma_f32 v255, src_scc, v2, v10 :: v_dual_fmac_f32 v7, -1, v3 ; encoding: [0xfd,0x00,0x4c,0xcf,0xc1,0x00,0x02,0x0a,0xff,0x03,0x00,0x07]
// W64-ERR: :[[@LINE-2]]:1: error: instruction requires wavesize=32

v_dual_fma_f32 v255, 0.5, v3, v10 :: v_dual_fmac_f32 v7, 0.5, v2
// GFX1250: v_dual_fma_f32 v255, 0.5, v3, v10 :: v_dual_fmac_f32 v7, 0.5, v2 ; encoding: [0xf0,0x00,0x4c,0xcf,0xf0,0x00,0x03,0x0a,0xff,0x02,0x00,0x07]
// W64-ERR: :[[@LINE-2]]:1: error: instruction requires wavesize=32

v_dual_fma_f32 v255, -1, v4, v10 :: v_dual_fmac_f32 v7, src_scc, v5
// GFX1250: v_dual_fma_f32 v255, -1, v4, v10 :: v_dual_fmac_f32 v7, src_scc, v5 ; encoding: [0xc1,0x00,0x4c,0xcf,0xfd,0x00,0x04,0x0a,0xff,0x05,0x00,0x07]
// W64-ERR: :[[@LINE-2]]:1: error: instruction requires wavesize=32

v_dual_fma_f32 v255, v4, v2, v10 :: v_dual_lshlrev_b32 v7, v1, v3
// GFX1250: v_dual_fma_f32 v255, v4, v2, v10 :: v_dual_lshlrev_b32 v7, v1, v3 ; encoding: [0x04,0x11,0x4d,0xcf,0x01,0x01,0x02,0x0a,0xff,0x03,0x00,0x07]
// W64-ERR: :[[@LINE-2]]:1: error: instruction requires wavesize=32

v_dual_fma_f32 v255, v1, v2, v10 :: v_dual_lshlrev_b32 v7, v255, v3
// GFX1250: v_dual_fma_f32 v255, v1, v2, v10 :: v_dual_lshlrev_b32 v7, v255, v3 ; encoding: [0x01,0x11,0x4d,0xcf,0xff,0x01,0x02,0x0a,0xff,0x03,0x00,0x07]
	;; [unrolled: 4-line block ×7, first 2 shown]
// W64-ERR: :[[@LINE-2]]:1: error: instruction requires wavesize=32

v_dual_fma_f32 v255, ttmp15, v2, v10 :: v_dual_lshlrev_b32 v7, vcc_lo, v3
// GFX1250: v_dual_fma_f32 v255, ttmp15, v2, v10 :: v_dual_lshlrev_b32 v7, vcc_lo, v3 ; encoding: [0x7b,0x10,0x4d,0xcf,0x6a,0x00,0x02,0x0a,0xff,0x03,0x00,0x07]
// W64-ERR: :[[@LINE-2]]:1: error: instruction requires wavesize=32

v_dual_fma_f32 v255, exec_hi, v2, v10 :: v_dual_lshlrev_b32 v7, vcc_hi, v3
// GFX1250: v_dual_fma_f32 v255, exec_hi, v2, v10 :: v_dual_lshlrev_b32 v7, vcc_hi, v3 ; encoding: [0x7f,0x10,0x4d,0xcf,0x6b,0x00,0x02,0x0a,0xff,0x03,0x00,0x07]
// W64-ERR: :[[@LINE-2]]:1: error: instruction requires wavesize=32

v_dual_fma_f32 v255, exec_lo, v2, v10 :: v_dual_lshlrev_b32 v7, ttmp15, v3
// GFX1250: v_dual_fma_f32 v255, exec_lo, v2, v10 :: v_dual_lshlrev_b32 v7, ttmp15, v3 ; encoding: [0x7e,0x10,0x4d,0xcf,0x7b,0x00,0x02,0x0a,0xff,0x03,0x00,0x07]
// W64-ERR: :[[@LINE-2]]:1: error: instruction requires wavesize=32

v_dual_fma_f32 v255, m0, v2, v10 :: v_dual_lshlrev_b32 v7, m0, v3
// GFX1250: v_dual_fma_f32 v255, m0, v2, v10 :: v_dual_lshlrev_b32 v7, m0, v3 ; encoding: [0x7d,0x10,0x4d,0xcf,0x7d,0x00,0x02,0x0a,0xff,0x03,0x00,0x07]
// W64-ERR: :[[@LINE-2]]:1: error: instruction requires wavesize=32

v_dual_fma_f32 v255, vcc_hi, v2, v10 :: v_dual_lshlrev_b32 v7, exec_lo, v3
// GFX1250: v_dual_fma_f32 v255, vcc_hi, v2, v10 :: v_dual_lshlrev_b32 v7, exec_lo, v3 ; encoding: [0x6b,0x10,0x4d,0xcf,0x7e,0x00,0x02,0x0a,0xff,0x03,0x00,0x07]
// W64-ERR: :[[@LINE-2]]:1: error: instruction requires wavesize=32

v_dual_fma_f32 v255, vcc_lo, v2, v10 :: v_dual_lshlrev_b32 v7, exec_hi, v3
// GFX1250: v_dual_fma_f32 v255, vcc_lo, v2, v10 :: v_dual_lshlrev_b32 v7, exec_hi, v3 ; encoding: [0x6a,0x10,0x4d,0xcf,0x7f,0x00,0x02,0x0a,0xff,0x03,0x00,0x07]
// W64-ERR: :[[@LINE-2]]:1: error: instruction requires wavesize=32

v_dual_fma_f32 v255, src_scc, v2, v10 :: v_dual_lshlrev_b32 v7, -1, v3
// GFX1250: v_dual_fma_f32 v255, src_scc, v2, v10 :: v_dual_lshlrev_b32 v7, -1, v3 ; encoding: [0xfd,0x10,0x4d,0xcf,0xc1,0x00,0x02,0x0a,0xff,0x03,0x00,0x07]
// W64-ERR: :[[@LINE-2]]:1: error: instruction requires wavesize=32

v_dual_fma_f32 v255, 0.5, v3, v10 :: v_dual_lshlrev_b32 v7, 0.5, v2
// GFX1250: v_dual_fma_f32 v255, 0.5, v3, v10 :: v_dual_lshlrev_b32 v7, 0.5, v2 ; encoding: [0xf0,0x10,0x4d,0xcf,0xf0,0x00,0x03,0x0a,0xff,0x02,0x00,0x07]
// W64-ERR: :[[@LINE-2]]:1: error: instruction requires wavesize=32

v_dual_fma_f32 v255, -1, v4, v10 :: v_dual_lshlrev_b32 v7, src_scc, v5
// GFX1250: v_dual_fma_f32 v255, -1, v4, v10 :: v_dual_lshlrev_b32 v7, src_scc, v5 ; encoding: [0xc1,0x10,0x4d,0xcf,0xfd,0x00,0x04,0x0a,0xff,0x05,0x00,0x07]
// W64-ERR: :[[@LINE-2]]:1: error: instruction requires wavesize=32

v_dual_fma_f32 v255, v4, v2, v10 :: v_dual_max_num_f32 v7, v1, v3
// GFX1250: v_dual_fma_f32 v255, v4, v2, v10 :: v_dual_max_num_f32 v7, v1, v3 ; encoding: [0x04,0xa1,0x4c,0xcf,0x01,0x01,0x02,0x0a,0xff,0x03,0x00,0x07]
// W64-ERR: :[[@LINE-2]]:1: error: instruction requires wavesize=32

v_dual_fma_f32 v255, v1, v2, v10 :: v_dual_max_num_f32 v7, v255, v3
// GFX1250: v_dual_fma_f32 v255, v1, v2, v10 :: v_dual_max_num_f32 v7, v255, v3 ; encoding: [0x01,0xa1,0x4c,0xcf,0xff,0x01,0x02,0x0a,0xff,0x03,0x00,0x07]
	;; [unrolled: 4-line block ×7, first 2 shown]
// W64-ERR: :[[@LINE-2]]:1: error: instruction requires wavesize=32

v_dual_fma_f32 v255, ttmp15, v2, v10 :: v_dual_max_num_f32 v7, vcc_lo, v3
// GFX1250: v_dual_fma_f32 v255, ttmp15, v2, v10 :: v_dual_max_num_f32 v7, vcc_lo, v3 ; encoding: [0x7b,0xa0,0x4c,0xcf,0x6a,0x00,0x02,0x0a,0xff,0x03,0x00,0x07]
// W64-ERR: :[[@LINE-2]]:1: error: instruction requires wavesize=32

v_dual_fma_f32 v255, exec_hi, v2, v10 :: v_dual_max_num_f32 v7, vcc_hi, v3
// GFX1250: v_dual_fma_f32 v255, exec_hi, v2, v10 :: v_dual_max_num_f32 v7, vcc_hi, v3 ; encoding: [0x7f,0xa0,0x4c,0xcf,0x6b,0x00,0x02,0x0a,0xff,0x03,0x00,0x07]
// W64-ERR: :[[@LINE-2]]:1: error: instruction requires wavesize=32

v_dual_fma_f32 v255, exec_lo, v2, v10 :: v_dual_max_num_f32 v7, ttmp15, v3
// GFX1250: v_dual_fma_f32 v255, exec_lo, v2, v10 :: v_dual_max_num_f32 v7, ttmp15, v3 ; encoding: [0x7e,0xa0,0x4c,0xcf,0x7b,0x00,0x02,0x0a,0xff,0x03,0x00,0x07]
// W64-ERR: :[[@LINE-2]]:1: error: instruction requires wavesize=32

v_dual_fma_f32 v255, m0, v2, v10 :: v_dual_max_num_f32 v7, m0, v3
// GFX1250: v_dual_fma_f32 v255, m0, v2, v10 :: v_dual_max_num_f32 v7, m0, v3 ; encoding: [0x7d,0xa0,0x4c,0xcf,0x7d,0x00,0x02,0x0a,0xff,0x03,0x00,0x07]
// W64-ERR: :[[@LINE-2]]:1: error: instruction requires wavesize=32

v_dual_fma_f32 v255, vcc_hi, v2, v10 :: v_dual_max_num_f32 v7, exec_lo, v3
// GFX1250: v_dual_fma_f32 v255, vcc_hi, v2, v10 :: v_dual_max_num_f32 v7, exec_lo, v3 ; encoding: [0x6b,0xa0,0x4c,0xcf,0x7e,0x00,0x02,0x0a,0xff,0x03,0x00,0x07]
// W64-ERR: :[[@LINE-2]]:1: error: instruction requires wavesize=32

v_dual_fma_f32 v255, vcc_lo, v2, v10 :: v_dual_max_num_f32 v7, exec_hi, v3
// GFX1250: v_dual_fma_f32 v255, vcc_lo, v2, v10 :: v_dual_max_num_f32 v7, exec_hi, v3 ; encoding: [0x6a,0xa0,0x4c,0xcf,0x7f,0x00,0x02,0x0a,0xff,0x03,0x00,0x07]
// W64-ERR: :[[@LINE-2]]:1: error: instruction requires wavesize=32

v_dual_fma_f32 v255, src_scc, v2, v10 :: v_dual_max_num_f32 v7, -1, v3
// GFX1250: v_dual_fma_f32 v255, src_scc, v2, v10 :: v_dual_max_num_f32 v7, -1, v3 ; encoding: [0xfd,0xa0,0x4c,0xcf,0xc1,0x00,0x02,0x0a,0xff,0x03,0x00,0x07]
// W64-ERR: :[[@LINE-2]]:1: error: instruction requires wavesize=32

v_dual_fma_f32 v255, 0.5, v3, v10 :: v_dual_max_num_f32 v7, 0.5, v2
// GFX1250: v_dual_fma_f32 v255, 0.5, v3, v10 :: v_dual_max_num_f32 v7, 0.5, v2 ; encoding: [0xf0,0xa0,0x4c,0xcf,0xf0,0x00,0x03,0x0a,0xff,0x02,0x00,0x07]
// W64-ERR: :[[@LINE-2]]:1: error: instruction requires wavesize=32

v_dual_fma_f32 v255, -1, v4, v10 :: v_dual_max_num_f32 v7, src_scc, v5
// GFX1250: v_dual_fma_f32 v255, -1, v4, v10 :: v_dual_max_num_f32 v7, src_scc, v5 ; encoding: [0xc1,0xa0,0x4c,0xcf,0xfd,0x00,0x04,0x0a,0xff,0x05,0x00,0x07]
// W64-ERR: :[[@LINE-2]]:1: error: instruction requires wavesize=32

v_dual_fma_f32 v255, v4, v2, v10 :: v_dual_min_num_f32 v7, v1, v3
// GFX1250: v_dual_fma_f32 v255, v4, v2, v10 :: v_dual_min_num_f32 v7, v1, v3 ; encoding: [0x04,0xb1,0x4c,0xcf,0x01,0x01,0x02,0x0a,0xff,0x03,0x00,0x07]
// W64-ERR: :[[@LINE-2]]:1: error: instruction requires wavesize=32

v_dual_fma_f32 v255, v1, v2, v10 :: v_dual_min_num_f32 v7, v255, v3
// GFX1250: v_dual_fma_f32 v255, v1, v2, v10 :: v_dual_min_num_f32 v7, v255, v3 ; encoding: [0x01,0xb1,0x4c,0xcf,0xff,0x01,0x02,0x0a,0xff,0x03,0x00,0x07]
	;; [unrolled: 4-line block ×7, first 2 shown]
// W64-ERR: :[[@LINE-2]]:1: error: instruction requires wavesize=32

v_dual_fma_f32 v255, ttmp15, v2, v10 :: v_dual_min_num_f32 v7, vcc_lo, v3
// GFX1250: v_dual_fma_f32 v255, ttmp15, v2, v10 :: v_dual_min_num_f32 v7, vcc_lo, v3 ; encoding: [0x7b,0xb0,0x4c,0xcf,0x6a,0x00,0x02,0x0a,0xff,0x03,0x00,0x07]
// W64-ERR: :[[@LINE-2]]:1: error: instruction requires wavesize=32

v_dual_fma_f32 v255, exec_hi, v2, v10 :: v_dual_min_num_f32 v7, vcc_hi, v3
// GFX1250: v_dual_fma_f32 v255, exec_hi, v2, v10 :: v_dual_min_num_f32 v7, vcc_hi, v3 ; encoding: [0x7f,0xb0,0x4c,0xcf,0x6b,0x00,0x02,0x0a,0xff,0x03,0x00,0x07]
// W64-ERR: :[[@LINE-2]]:1: error: instruction requires wavesize=32

v_dual_fma_f32 v255, exec_lo, v2, v10 :: v_dual_min_num_f32 v7, ttmp15, v3
// GFX1250: v_dual_fma_f32 v255, exec_lo, v2, v10 :: v_dual_min_num_f32 v7, ttmp15, v3 ; encoding: [0x7e,0xb0,0x4c,0xcf,0x7b,0x00,0x02,0x0a,0xff,0x03,0x00,0x07]
// W64-ERR: :[[@LINE-2]]:1: error: instruction requires wavesize=32

v_dual_fma_f32 v255, m0, v2, v10 :: v_dual_min_num_f32 v7, m0, v3
// GFX1250: v_dual_fma_f32 v255, m0, v2, v10 :: v_dual_min_num_f32 v7, m0, v3 ; encoding: [0x7d,0xb0,0x4c,0xcf,0x7d,0x00,0x02,0x0a,0xff,0x03,0x00,0x07]
// W64-ERR: :[[@LINE-2]]:1: error: instruction requires wavesize=32

v_dual_fma_f32 v255, vcc_hi, v2, v10 :: v_dual_min_num_f32 v7, exec_lo, v3
// GFX1250: v_dual_fma_f32 v255, vcc_hi, v2, v10 :: v_dual_min_num_f32 v7, exec_lo, v3 ; encoding: [0x6b,0xb0,0x4c,0xcf,0x7e,0x00,0x02,0x0a,0xff,0x03,0x00,0x07]
// W64-ERR: :[[@LINE-2]]:1: error: instruction requires wavesize=32

v_dual_fma_f32 v255, vcc_lo, v2, v10 :: v_dual_min_num_f32 v7, exec_hi, v3
// GFX1250: v_dual_fma_f32 v255, vcc_lo, v2, v10 :: v_dual_min_num_f32 v7, exec_hi, v3 ; encoding: [0x6a,0xb0,0x4c,0xcf,0x7f,0x00,0x02,0x0a,0xff,0x03,0x00,0x07]
// W64-ERR: :[[@LINE-2]]:1: error: instruction requires wavesize=32

v_dual_fma_f32 v255, src_scc, v2, v10 :: v_dual_min_num_f32 v7, -1, v3
// GFX1250: v_dual_fma_f32 v255, src_scc, v2, v10 :: v_dual_min_num_f32 v7, -1, v3 ; encoding: [0xfd,0xb0,0x4c,0xcf,0xc1,0x00,0x02,0x0a,0xff,0x03,0x00,0x07]
// W64-ERR: :[[@LINE-2]]:1: error: instruction requires wavesize=32

v_dual_fma_f32 v255, 0.5, v3, v10 :: v_dual_min_num_f32 v7, 0.5, v2
// GFX1250: v_dual_fma_f32 v255, 0.5, v3, v10 :: v_dual_min_num_f32 v7, 0.5, v2 ; encoding: [0xf0,0xb0,0x4c,0xcf,0xf0,0x00,0x03,0x0a,0xff,0x02,0x00,0x07]
// W64-ERR: :[[@LINE-2]]:1: error: instruction requires wavesize=32

v_dual_fma_f32 v255, -1, v4, v10 :: v_dual_min_num_f32 v7, src_scc, v5
// GFX1250: v_dual_fma_f32 v255, -1, v4, v10 :: v_dual_min_num_f32 v7, src_scc, v5 ; encoding: [0xc1,0xb0,0x4c,0xcf,0xfd,0x00,0x04,0x0a,0xff,0x05,0x00,0x07]
// W64-ERR: :[[@LINE-2]]:1: error: instruction requires wavesize=32

v_dual_fma_f32 v255, v4, v255, v10 :: v_dual_mov_b32 v7, v1
// GFX1250: v_dual_fma_f32 v255, v4, v255, v10 :: v_dual_mov_b32 v7, v1 ; encoding: [0x04,0x81,0x4c,0xcf,0x01,0x01,0xff,0x0a,0xff,0x00,0x00,0x07]
// W64-ERR: :[[@LINE-2]]:1: error: instruction requires wavesize=32

v_dual_fma_f32 v255, v1, v255, v10 :: v_dual_mov_b32 v7, v255
// GFX1250: v_dual_fma_f32 v255, v1, v255, v10 :: v_dual_mov_b32 v7, v255 ; encoding: [0x01,0x81,0x4c,0xcf,0xff,0x01,0xff,0x0a,0xff,0x00,0x00,0x07]
	;; [unrolled: 4-line block ×7, first 2 shown]
// W64-ERR: :[[@LINE-2]]:1: error: instruction requires wavesize=32

v_dual_fma_f32 v255, ttmp15, v255, v10 :: v_dual_mov_b32 v7, vcc_lo
// GFX1250: v_dual_fma_f32 v255, ttmp15, v255, v10 :: v_dual_mov_b32 v7, vcc_lo ; encoding: [0x7b,0x80,0x4c,0xcf,0x6a,0x00,0xff,0x0a,0xff,0x00,0x00,0x07]
// W64-ERR: :[[@LINE-2]]:1: error: instruction requires wavesize=32

v_dual_fma_f32 v255, exec_hi, v255, v10 :: v_dual_mov_b32 v7, vcc_hi
// GFX1250: v_dual_fma_f32 v255, exec_hi, v255, v10 :: v_dual_mov_b32 v7, vcc_hi ; encoding: [0x7f,0x80,0x4c,0xcf,0x6b,0x00,0xff,0x0a,0xff,0x00,0x00,0x07]
// W64-ERR: :[[@LINE-2]]:1: error: instruction requires wavesize=32

v_dual_fma_f32 v255, exec_lo, v255, v10 :: v_dual_mov_b32 v7, ttmp15
// GFX1250: v_dual_fma_f32 v255, exec_lo, v255, v10 :: v_dual_mov_b32 v7, ttmp15 ; encoding: [0x7e,0x80,0x4c,0xcf,0x7b,0x00,0xff,0x0a,0xff,0x00,0x00,0x07]
// W64-ERR: :[[@LINE-2]]:1: error: instruction requires wavesize=32

v_dual_fma_f32 v255, m0, v255, v10 :: v_dual_mov_b32 v7, m0
// GFX1250: v_dual_fma_f32 v255, m0, v255, v10 :: v_dual_mov_b32 v7, m0 ; encoding: [0x7d,0x80,0x4c,0xcf,0x7d,0x00,0xff,0x0a,0xff,0x00,0x00,0x07]
// W64-ERR: :[[@LINE-2]]:1: error: instruction requires wavesize=32

v_dual_fma_f32 v255, vcc_hi, v255, v10 :: v_dual_mov_b32 v7, exec_lo
// GFX1250: v_dual_fma_f32 v255, vcc_hi, v255, v10 :: v_dual_mov_b32 v7, exec_lo ; encoding: [0x6b,0x80,0x4c,0xcf,0x7e,0x00,0xff,0x0a,0xff,0x00,0x00,0x07]
// W64-ERR: :[[@LINE-2]]:1: error: instruction requires wavesize=32

v_dual_fma_f32 v255, vcc_lo, v255, v10 :: v_dual_mov_b32 v7, exec_hi
// GFX1250: v_dual_fma_f32 v255, vcc_lo, v255, v10 :: v_dual_mov_b32 v7, exec_hi ; encoding: [0x6a,0x80,0x4c,0xcf,0x7f,0x00,0xff,0x0a,0xff,0x00,0x00,0x07]
// W64-ERR: :[[@LINE-2]]:1: error: instruction requires wavesize=32

v_dual_fma_f32 v255, src_scc, v255, v10 :: v_dual_mov_b32 v7, -1
// GFX1250: v_dual_fma_f32 v255, src_scc, v255, v10 :: v_dual_mov_b32 v7, -1 ; encoding: [0xfd,0x80,0x4c,0xcf,0xc1,0x00,0xff,0x0a,0xff,0x00,0x00,0x07]
// W64-ERR: :[[@LINE-2]]:1: error: instruction requires wavesize=32

v_dual_fma_f32 v255, 0.5, v3, v10 :: v_dual_mov_b32 v7, 0.5
// GFX1250: v_dual_fma_f32 v255, 0.5, v3, v10 :: v_dual_mov_b32 v7, 0.5 ; encoding: [0xf0,0x80,0x4c,0xcf,0xf0,0x00,0x03,0x0a,0xff,0x00,0x00,0x07]
// W64-ERR: :[[@LINE-2]]:1: error: instruction requires wavesize=32

v_dual_fma_f32 v255, -1, v4, v10 :: v_dual_mov_b32 v7, src_scc
// GFX1250: v_dual_fma_f32 v255, -1, v4, v10 :: v_dual_mov_b32 v7, src_scc ; encoding: [0xc1,0x80,0x4c,0xcf,0xfd,0x00,0x04,0x0a,0xff,0x00,0x00,0x07]
// W64-ERR: :[[@LINE-2]]:1: error: instruction requires wavesize=32

v_dual_fma_f32 v255, v4, v2, v10 :: v_dual_mul_dx9_zero_f32 v7, v1, v3
// GFX1250: v_dual_fma_f32 v255, v4, v2, v10 :: v_dual_mul_dx9_zero_f32 v7, v1, v3 ; encoding: [0x04,0x71,0x4c,0xcf,0x01,0x01,0x02,0x0a,0xff,0x03,0x00,0x07]
// W64-ERR: :[[@LINE-2]]:1: error: instruction requires wavesize=32

v_dual_fma_f32 v255, v1, v2, v10 :: v_dual_mul_dx9_zero_f32 v7, v255, v3
// GFX1250: v_dual_fma_f32 v255, v1, v2, v10 :: v_dual_mul_dx9_zero_f32 v7, v255, v3 ; encoding: [0x01,0x71,0x4c,0xcf,0xff,0x01,0x02,0x0a,0xff,0x03,0x00,0x07]
	;; [unrolled: 4-line block ×7, first 2 shown]
// W64-ERR: :[[@LINE-2]]:1: error: instruction requires wavesize=32

v_dual_fma_f32 v255, ttmp15, v2, v10 :: v_dual_mul_dx9_zero_f32 v7, vcc_lo, v3
// GFX1250: v_dual_fma_f32 v255, ttmp15, v2, v10 :: v_dual_mul_dx9_zero_f32 v7, vcc_lo, v3 ; encoding: [0x7b,0x70,0x4c,0xcf,0x6a,0x00,0x02,0x0a,0xff,0x03,0x00,0x07]
// W64-ERR: :[[@LINE-2]]:1: error: instruction requires wavesize=32

v_dual_fma_f32 v255, exec_hi, v2, v10 :: v_dual_mul_dx9_zero_f32 v7, vcc_hi, v3
// GFX1250: v_dual_fma_f32 v255, exec_hi, v2, v10 :: v_dual_mul_dx9_zero_f32 v7, vcc_hi, v3 ; encoding: [0x7f,0x70,0x4c,0xcf,0x6b,0x00,0x02,0x0a,0xff,0x03,0x00,0x07]
// W64-ERR: :[[@LINE-2]]:1: error: instruction requires wavesize=32

v_dual_fma_f32 v255, exec_lo, v2, v10 :: v_dual_mul_dx9_zero_f32 v7, ttmp15, v3
// GFX1250: v_dual_fma_f32 v255, exec_lo, v2, v10 :: v_dual_mul_dx9_zero_f32 v7, ttmp15, v3 ; encoding: [0x7e,0x70,0x4c,0xcf,0x7b,0x00,0x02,0x0a,0xff,0x03,0x00,0x07]
// W64-ERR: :[[@LINE-2]]:1: error: instruction requires wavesize=32

v_dual_fma_f32 v255, m0, v2, v10 :: v_dual_mul_dx9_zero_f32 v7, m0, v3
// GFX1250: v_dual_fma_f32 v255, m0, v2, v10 :: v_dual_mul_dx9_zero_f32 v7, m0, v3 ; encoding: [0x7d,0x70,0x4c,0xcf,0x7d,0x00,0x02,0x0a,0xff,0x03,0x00,0x07]
// W64-ERR: :[[@LINE-2]]:1: error: instruction requires wavesize=32

v_dual_fma_f32 v255, vcc_hi, v2, v10 :: v_dual_mul_dx9_zero_f32 v7, exec_lo, v3
// GFX1250: v_dual_fma_f32 v255, vcc_hi, v2, v10 :: v_dual_mul_dx9_zero_f32 v7, exec_lo, v3 ; encoding: [0x6b,0x70,0x4c,0xcf,0x7e,0x00,0x02,0x0a,0xff,0x03,0x00,0x07]
// W64-ERR: :[[@LINE-2]]:1: error: instruction requires wavesize=32

v_dual_fma_f32 v255, vcc_lo, v2, v10 :: v_dual_mul_dx9_zero_f32 v7, exec_hi, v3
// GFX1250: v_dual_fma_f32 v255, vcc_lo, v2, v10 :: v_dual_mul_dx9_zero_f32 v7, exec_hi, v3 ; encoding: [0x6a,0x70,0x4c,0xcf,0x7f,0x00,0x02,0x0a,0xff,0x03,0x00,0x07]
// W64-ERR: :[[@LINE-2]]:1: error: instruction requires wavesize=32

v_dual_fma_f32 v255, src_scc, v2, v10 :: v_dual_mul_dx9_zero_f32 v7, -1, v3
// GFX1250: v_dual_fma_f32 v255, src_scc, v2, v10 :: v_dual_mul_dx9_zero_f32 v7, -1, v3 ; encoding: [0xfd,0x70,0x4c,0xcf,0xc1,0x00,0x02,0x0a,0xff,0x03,0x00,0x07]
// W64-ERR: :[[@LINE-2]]:1: error: instruction requires wavesize=32

v_dual_fma_f32 v255, 0.5, v3, v10 :: v_dual_mul_dx9_zero_f32 v7, 0.5, v2
// GFX1250: v_dual_fma_f32 v255, 0.5, v3, v10 :: v_dual_mul_dx9_zero_f32 v7, 0.5, v2 ; encoding: [0xf0,0x70,0x4c,0xcf,0xf0,0x00,0x03,0x0a,0xff,0x02,0x00,0x07]
// W64-ERR: :[[@LINE-2]]:1: error: instruction requires wavesize=32

v_dual_fma_f32 v255, -1, v4, v10 :: v_dual_mul_dx9_zero_f32 v7, src_scc, v5
// GFX1250: v_dual_fma_f32 v255, -1, v4, v10 :: v_dual_mul_dx9_zero_f32 v7, src_scc, v5 ; encoding: [0xc1,0x70,0x4c,0xcf,0xfd,0x00,0x04,0x0a,0xff,0x05,0x00,0x07]
// W64-ERR: :[[@LINE-2]]:1: error: instruction requires wavesize=32

v_dual_fma_f32 v255, v4, v2, v10 :: v_dual_mul_f32 v7, v1, v3
// GFX1250: v_dual_fma_f32 v255, v4, v2, v10 :: v_dual_mul_f32 v7, v1, v3 ; encoding: [0x04,0x31,0x4c,0xcf,0x01,0x01,0x02,0x0a,0xff,0x03,0x00,0x07]
// W64-ERR: :[[@LINE-2]]:1: error: instruction requires wavesize=32

v_dual_fma_f32 v255, v1, v2, v10 :: v_dual_mul_f32 v7, v255, v3
// GFX1250: v_dual_fma_f32 v255, v1, v2, v10 :: v_dual_mul_f32 v7, v255, v3 ; encoding: [0x01,0x31,0x4c,0xcf,0xff,0x01,0x02,0x0a,0xff,0x03,0x00,0x07]
	;; [unrolled: 4-line block ×7, first 2 shown]
// W64-ERR: :[[@LINE-2]]:1: error: instruction requires wavesize=32

v_dual_fma_f32 v255, ttmp15, v2, v10 :: v_dual_mul_f32 v7, vcc_lo, v3
// GFX1250: v_dual_fma_f32 v255, ttmp15, v2, v10 :: v_dual_mul_f32 v7, vcc_lo, v3 ; encoding: [0x7b,0x30,0x4c,0xcf,0x6a,0x00,0x02,0x0a,0xff,0x03,0x00,0x07]
// W64-ERR: :[[@LINE-2]]:1: error: instruction requires wavesize=32

v_dual_fma_f32 v255, exec_hi, v2, v10 :: v_dual_mul_f32 v7, vcc_hi, v3
// GFX1250: v_dual_fma_f32 v255, exec_hi, v2, v10 :: v_dual_mul_f32 v7, vcc_hi, v3 ; encoding: [0x7f,0x30,0x4c,0xcf,0x6b,0x00,0x02,0x0a,0xff,0x03,0x00,0x07]
// W64-ERR: :[[@LINE-2]]:1: error: instruction requires wavesize=32

v_dual_fma_f32 v255, exec_lo, v2, v10 :: v_dual_mul_f32 v7, ttmp15, v3
// GFX1250: v_dual_fma_f32 v255, exec_lo, v2, v10 :: v_dual_mul_f32 v7, ttmp15, v3 ; encoding: [0x7e,0x30,0x4c,0xcf,0x7b,0x00,0x02,0x0a,0xff,0x03,0x00,0x07]
// W64-ERR: :[[@LINE-2]]:1: error: instruction requires wavesize=32

v_dual_fma_f32 v255, m0, v2, v10 :: v_dual_mul_f32 v7, m0, v3
// GFX1250: v_dual_fma_f32 v255, m0, v2, v10 :: v_dual_mul_f32 v7, m0, v3 ; encoding: [0x7d,0x30,0x4c,0xcf,0x7d,0x00,0x02,0x0a,0xff,0x03,0x00,0x07]
// W64-ERR: :[[@LINE-2]]:1: error: instruction requires wavesize=32

v_dual_fma_f32 v255, vcc_hi, v2, v10 :: v_dual_mul_f32 v7, exec_lo, v3
// GFX1250: v_dual_fma_f32 v255, vcc_hi, v2, v10 :: v_dual_mul_f32 v7, exec_lo, v3 ; encoding: [0x6b,0x30,0x4c,0xcf,0x7e,0x00,0x02,0x0a,0xff,0x03,0x00,0x07]
// W64-ERR: :[[@LINE-2]]:1: error: instruction requires wavesize=32

v_dual_fma_f32 v255, vcc_lo, v2, v10 :: v_dual_mul_f32 v7, exec_hi, v3
// GFX1250: v_dual_fma_f32 v255, vcc_lo, v2, v10 :: v_dual_mul_f32 v7, exec_hi, v3 ; encoding: [0x6a,0x30,0x4c,0xcf,0x7f,0x00,0x02,0x0a,0xff,0x03,0x00,0x07]
// W64-ERR: :[[@LINE-2]]:1: error: instruction requires wavesize=32

v_dual_fma_f32 v255, src_scc, v2, v10 :: v_dual_mul_f32 v7, -1, v3
// GFX1250: v_dual_fma_f32 v255, src_scc, v2, v10 :: v_dual_mul_f32 v7, -1, v3 ; encoding: [0xfd,0x30,0x4c,0xcf,0xc1,0x00,0x02,0x0a,0xff,0x03,0x00,0x07]
// W64-ERR: :[[@LINE-2]]:1: error: instruction requires wavesize=32

v_dual_fma_f32 v255, 0.5, v3, v10 :: v_dual_mul_f32 v7, 0.5, v2
// GFX1250: v_dual_fma_f32 v255, 0.5, v3, v10 :: v_dual_mul_f32 v7, 0.5, v2 ; encoding: [0xf0,0x30,0x4c,0xcf,0xf0,0x00,0x03,0x0a,0xff,0x02,0x00,0x07]
// W64-ERR: :[[@LINE-2]]:1: error: instruction requires wavesize=32

v_dual_fma_f32 v255, -1, v4, v10 :: v_dual_mul_f32 v7, src_scc, v5
// GFX1250: v_dual_fma_f32 v255, -1, v4, v10 :: v_dual_mul_f32 v7, src_scc, v5 ; encoding: [0xc1,0x30,0x4c,0xcf,0xfd,0x00,0x04,0x0a,0xff,0x05,0x00,0x07]
// W64-ERR: :[[@LINE-2]]:1: error: instruction requires wavesize=32

v_dual_fma_f32 v255, v4, v2, v10 :: v_dual_sub_f32 v7, v1, v3
// GFX1250: v_dual_fma_f32 v255, v4, v2, v10 :: v_dual_sub_f32 v7, v1, v3 ; encoding: [0x04,0x51,0x4c,0xcf,0x01,0x01,0x02,0x0a,0xff,0x03,0x00,0x07]
// W64-ERR: :[[@LINE-2]]:1: error: instruction requires wavesize=32

v_dual_fma_f32 v255, v1, v2, v10 :: v_dual_sub_f32 v7, v255, v3
// GFX1250: v_dual_fma_f32 v255, v1, v2, v10 :: v_dual_sub_f32 v7, v255, v3 ; encoding: [0x01,0x51,0x4c,0xcf,0xff,0x01,0x02,0x0a,0xff,0x03,0x00,0x07]
	;; [unrolled: 4-line block ×7, first 2 shown]
// W64-ERR: :[[@LINE-2]]:1: error: instruction requires wavesize=32

v_dual_fma_f32 v255, ttmp15, v2, v10 :: v_dual_sub_f32 v7, vcc_lo, v3
// GFX1250: v_dual_fma_f32 v255, ttmp15, v2, v10 :: v_dual_sub_f32 v7, vcc_lo, v3 ; encoding: [0x7b,0x50,0x4c,0xcf,0x6a,0x00,0x02,0x0a,0xff,0x03,0x00,0x07]
// W64-ERR: :[[@LINE-2]]:1: error: instruction requires wavesize=32

v_dual_fma_f32 v255, exec_hi, v2, v10 :: v_dual_sub_f32 v7, vcc_hi, v3
// GFX1250: v_dual_fma_f32 v255, exec_hi, v2, v10 :: v_dual_sub_f32 v7, vcc_hi, v3 ; encoding: [0x7f,0x50,0x4c,0xcf,0x6b,0x00,0x02,0x0a,0xff,0x03,0x00,0x07]
// W64-ERR: :[[@LINE-2]]:1: error: instruction requires wavesize=32

v_dual_fma_f32 v255, exec_lo, v2, v10 :: v_dual_sub_f32 v7, ttmp15, v3
// GFX1250: v_dual_fma_f32 v255, exec_lo, v2, v10 :: v_dual_sub_f32 v7, ttmp15, v3 ; encoding: [0x7e,0x50,0x4c,0xcf,0x7b,0x00,0x02,0x0a,0xff,0x03,0x00,0x07]
// W64-ERR: :[[@LINE-2]]:1: error: instruction requires wavesize=32

v_dual_fma_f32 v255, m0, v2, v10 :: v_dual_sub_f32 v7, m0, v3
// GFX1250: v_dual_fma_f32 v255, m0, v2, v10 :: v_dual_sub_f32 v7, m0, v3 ; encoding: [0x7d,0x50,0x4c,0xcf,0x7d,0x00,0x02,0x0a,0xff,0x03,0x00,0x07]
// W64-ERR: :[[@LINE-2]]:1: error: instruction requires wavesize=32

v_dual_fma_f32 v255, vcc_hi, v2, v10 :: v_dual_sub_f32 v7, exec_lo, v3
// GFX1250: v_dual_fma_f32 v255, vcc_hi, v2, v10 :: v_dual_sub_f32 v7, exec_lo, v3 ; encoding: [0x6b,0x50,0x4c,0xcf,0x7e,0x00,0x02,0x0a,0xff,0x03,0x00,0x07]
// W64-ERR: :[[@LINE-2]]:1: error: instruction requires wavesize=32

v_dual_fma_f32 v255, vcc_lo, v2, v10 :: v_dual_sub_f32 v7, exec_hi, v3
// GFX1250: v_dual_fma_f32 v255, vcc_lo, v2, v10 :: v_dual_sub_f32 v7, exec_hi, v3 ; encoding: [0x6a,0x50,0x4c,0xcf,0x7f,0x00,0x02,0x0a,0xff,0x03,0x00,0x07]
// W64-ERR: :[[@LINE-2]]:1: error: instruction requires wavesize=32

v_dual_fma_f32 v255, src_scc, v2, v10 :: v_dual_sub_f32 v7, -1, v3
// GFX1250: v_dual_fma_f32 v255, src_scc, v2, v10 :: v_dual_sub_f32 v7, -1, v3 ; encoding: [0xfd,0x50,0x4c,0xcf,0xc1,0x00,0x02,0x0a,0xff,0x03,0x00,0x07]
// W64-ERR: :[[@LINE-2]]:1: error: instruction requires wavesize=32

v_dual_fma_f32 v255, 0.5, v3, v10 :: v_dual_sub_f32 v7, 0.5, v2
// GFX1250: v_dual_fma_f32 v255, 0.5, v3, v10 :: v_dual_sub_f32 v7, 0.5, v2 ; encoding: [0xf0,0x50,0x4c,0xcf,0xf0,0x00,0x03,0x0a,0xff,0x02,0x00,0x07]
// W64-ERR: :[[@LINE-2]]:1: error: instruction requires wavesize=32

v_dual_fma_f32 v255, -1, v4, v10 :: v_dual_sub_f32 v7, src_scc, v5
// GFX1250: v_dual_fma_f32 v255, -1, v4, v10 :: v_dual_sub_f32 v7, src_scc, v5 ; encoding: [0xc1,0x50,0x4c,0xcf,0xfd,0x00,0x04,0x0a,0xff,0x05,0x00,0x07]
// W64-ERR: :[[@LINE-2]]:1: error: instruction requires wavesize=32

v_dual_fma_f32 v255, v4, v2, v10 :: v_dual_subrev_f32 v7, v1, v3
// GFX1250: v_dual_fma_f32 v255, v4, v2, v10 :: v_dual_subrev_f32 v7, v1, v3 ; encoding: [0x04,0x61,0x4c,0xcf,0x01,0x01,0x02,0x0a,0xff,0x03,0x00,0x07]
// W64-ERR: :[[@LINE-2]]:1: error: instruction requires wavesize=32

v_dual_fma_f32 v255, v1, v2, v10 :: v_dual_subrev_f32 v7, v255, v3
// GFX1250: v_dual_fma_f32 v255, v1, v2, v10 :: v_dual_subrev_f32 v7, v255, v3 ; encoding: [0x01,0x61,0x4c,0xcf,0xff,0x01,0x02,0x0a,0xff,0x03,0x00,0x07]
	;; [unrolled: 4-line block ×7, first 2 shown]
// W64-ERR: :[[@LINE-2]]:1: error: instruction requires wavesize=32

v_dual_fma_f32 v255, ttmp15, v2, v10 :: v_dual_subrev_f32 v7, vcc_lo, v3
// GFX1250: v_dual_fma_f32 v255, ttmp15, v2, v10 :: v_dual_subrev_f32 v7, vcc_lo, v3 ; encoding: [0x7b,0x60,0x4c,0xcf,0x6a,0x00,0x02,0x0a,0xff,0x03,0x00,0x07]
// W64-ERR: :[[@LINE-2]]:1: error: instruction requires wavesize=32

v_dual_fma_f32 v255, exec_hi, v2, v10 :: v_dual_subrev_f32 v7, vcc_hi, v3
// GFX1250: v_dual_fma_f32 v255, exec_hi, v2, v10 :: v_dual_subrev_f32 v7, vcc_hi, v3 ; encoding: [0x7f,0x60,0x4c,0xcf,0x6b,0x00,0x02,0x0a,0xff,0x03,0x00,0x07]
// W64-ERR: :[[@LINE-2]]:1: error: instruction requires wavesize=32

v_dual_fma_f32 v255, exec_lo, v2, v10 :: v_dual_subrev_f32 v7, ttmp15, v3
// GFX1250: v_dual_fma_f32 v255, exec_lo, v2, v10 :: v_dual_subrev_f32 v7, ttmp15, v3 ; encoding: [0x7e,0x60,0x4c,0xcf,0x7b,0x00,0x02,0x0a,0xff,0x03,0x00,0x07]
// W64-ERR: :[[@LINE-2]]:1: error: instruction requires wavesize=32

v_dual_fma_f32 v255, m0, v2, v10 :: v_dual_subrev_f32 v7, m0, v3
// GFX1250: v_dual_fma_f32 v255, m0, v2, v10 :: v_dual_subrev_f32 v7, m0, v3 ; encoding: [0x7d,0x60,0x4c,0xcf,0x7d,0x00,0x02,0x0a,0xff,0x03,0x00,0x07]
// W64-ERR: :[[@LINE-2]]:1: error: instruction requires wavesize=32

v_dual_fma_f32 v255, vcc_hi, v2, v10 :: v_dual_subrev_f32 v7, exec_lo, v3
// GFX1250: v_dual_fma_f32 v255, vcc_hi, v2, v10 :: v_dual_subrev_f32 v7, exec_lo, v3 ; encoding: [0x6b,0x60,0x4c,0xcf,0x7e,0x00,0x02,0x0a,0xff,0x03,0x00,0x07]
// W64-ERR: :[[@LINE-2]]:1: error: instruction requires wavesize=32

v_dual_fma_f32 v255, vcc_lo, v2, v10 :: v_dual_subrev_f32 v7, exec_hi, v3
// GFX1250: v_dual_fma_f32 v255, vcc_lo, v2, v10 :: v_dual_subrev_f32 v7, exec_hi, v3 ; encoding: [0x6a,0x60,0x4c,0xcf,0x7f,0x00,0x02,0x0a,0xff,0x03,0x00,0x07]
// W64-ERR: :[[@LINE-2]]:1: error: instruction requires wavesize=32

v_dual_fma_f32 v255, src_scc, v2, v10 :: v_dual_subrev_f32 v7, -1, v3
// GFX1250: v_dual_fma_f32 v255, src_scc, v2, v10 :: v_dual_subrev_f32 v7, -1, v3 ; encoding: [0xfd,0x60,0x4c,0xcf,0xc1,0x00,0x02,0x0a,0xff,0x03,0x00,0x07]
// W64-ERR: :[[@LINE-2]]:1: error: instruction requires wavesize=32

v_dual_fma_f32 v255, 0.5, v3, v10 :: v_dual_subrev_f32 v7, 0.5, v2
// GFX1250: v_dual_fma_f32 v255, 0.5, v3, v10 :: v_dual_subrev_f32 v7, 0.5, v2 ; encoding: [0xf0,0x60,0x4c,0xcf,0xf0,0x00,0x03,0x0a,0xff,0x02,0x00,0x07]
// W64-ERR: :[[@LINE-2]]:1: error: instruction requires wavesize=32

v_dual_fma_f32 v255, -1, v4, v10 :: v_dual_subrev_f32 v7, src_scc, v5
// GFX1250: v_dual_fma_f32 v255, -1, v4, v10 :: v_dual_subrev_f32 v7, src_scc, v5 ; encoding: [0xc1,0x60,0x4c,0xcf,0xfd,0x00,0x04,0x0a,0xff,0x05,0x00,0x07]
// W64-ERR: :[[@LINE-2]]:1: error: instruction requires wavesize=32

v_dual_fma_f32 v1, v4, v2, v10 :: v_dual_fma_f32 v7, v1, v3, v4
// GFX1250: v_dual_fma_f32 v1, v4, v2, v10 :: v_dual_fma_f32 v7, v1, v3, v4 ; encoding: [0x04,0x31,0x4d,0xcf,0x01,0x01,0x02,0x0a,0x01,0x03,0x04,0x07]
// W64-ERR: :[[@LINE-2]]:1: error: instruction requires wavesize=32

v_dual_fma_f32 v1, v4, v2, v10 :: v_dual_sub_nc_u32 v9, v1, v13
// GFX1250: v_dual_fma_f32 v1, v4, v2, v10 :: v_dual_sub_nc_u32 v9, v1, v13 ; encoding: [0x04,0x41,0x4d,0xcf,0x01,0x01,0x02,0x0a,0x01,0x0d,0x00,0x09]
// W64-ERR: :[[@LINE-2]]:1: error: instruction requires wavesize=32

v_dual_fma_f32 v1, v4, v2, v10 :: v_dual_lshrrev_b32 v9, v1, v13
// GFX1250: v_dual_fma_f32 v1, v4, v2, v10 :: v_dual_lshrrev_b32 v9, v1, v13 ; encoding: [0x04,0x51,0x4d,0xcf,0x01,0x01,0x02,0x0a,0x01,0x0d,0x00,0x09]
// W64-ERR: :[[@LINE-2]]:1: error: instruction requires wavesize=32

v_dual_fma_f32 v1, v4, v2, v10 :: v_dual_ashrrev_i32 v9, v1, v13
// GFX1250: v_dual_fma_f32 v1, v4, v2, v10 :: v_dual_ashrrev_i32 v9, v1, v13 ; encoding: [0x04,0x61,0x4d,0xcf,0x01,0x01,0x02,0x0a,0x01,0x0d,0x00,0x09]
// W64-ERR: :[[@LINE-2]]:1: error: instruction requires wavesize=32

v_dual_fma_f32 v1, v4, v2, v10 :: v_dual_bitop2_b32 v7, v1, v3
// GFX1250: v_dual_fma_f32 v1, v4, v2, v10 :: v_dual_bitop2_b32 v7, v1, v3 ; encoding: [0x04,0x21,0x4d,0xcf,0x01,0x01,0x02,0x0a,0x01,0x03,0x00,0x07]
// W64-ERR: :[[@LINE-2]]:1: error: instruction requires wavesize=32

v_dual_fma_f64 v[252:253], v[6:7], v[4:5], v[10:11] :: v_dual_add_f32 v8, v1, v3
// GFX1250: v_dual_fma_f64 v[252:253], v[6:7], v[4:5], v[10:11] :: v_dual_add_f32 v8, v1, v3 ; encoding: [0x06,0x41,0x80,0xcf,0x01,0x01,0x04,0x0a,0xfc,0x03,0x00,0x08]
// W64-ERR: :[[@LINE-2]]:1: error: instruction requires wavesize=32

v_dual_fma_f64 v[254:255], v[2:3], v[4:5], v[10:11] :: v_dual_add_f32 v7, v253, v3
// GFX1250: v_dual_fma_f64 v[254:255], v[2:3], v[4:5], v[10:11] :: v_dual_add_f32 v7, v253, v3 ; encoding: [0x02,0x41,0x80,0xcf,0xfd,0x01,0x04,0x0a,0xfe,0x03,0x00,0x07]
	;; [unrolled: 4-line block ×6, first 2 shown]
// W64-ERR: :[[@LINE-2]]:1: error: instruction requires wavesize=32

v_dual_fma_f64 v[254:255], ttmp[14:15], v[4:5], v[10:11] :: v_dual_add_f32 v7, vcc_lo, v3
// GFX1250: v_dual_fma_f64 v[254:255], ttmp[14:15], v[4:5], v[10:11] :: v_dual_add_f32 v7, vcc_lo, v3 ; encoding: [0x7a,0x40,0x80,0xcf,0x6a,0x00,0x04,0x0a,0xfe,0x03,0x00,0x07]
// W64-ERR: :[[@LINE-2]]:1: error: instruction requires wavesize=32

v_dual_fma_f64 v[254:255], exec, v[4:5], v[10:11] :: v_dual_add_f32 v7, v15, v3
// GFX1250: v_dual_fma_f64 v[254:255], exec, v[4:5], v[10:11] :: v_dual_add_f32 v7, v15, v3 ; encoding: [0x7e,0x40,0x80,0xcf,0x0f,0x01,0x04,0x0a,0xfe,0x03,0x00,0x07]
// W64-ERR: :[[@LINE-2]]:1: error: instruction requires wavesize=32

v_dual_fma_f64 v[254:255], vcc, v[4:5], v[10:11] :: v_dual_add_f32 v7, exec_hi, v3
// GFX1250: v_dual_fma_f64 v[254:255], vcc, v[4:5], v[10:11] :: v_dual_add_f32 v7, exec_hi, v3 ; encoding: [0x6a,0x40,0x80,0xcf,0x7f,0x00,0x04,0x0a,0xfe,0x03,0x00,0x07]
// W64-ERR: :[[@LINE-2]]:1: error: instruction requires wavesize=32

v_dual_fma_f64 v[254:255], src_scc, v[4:5], v[10:11] :: v_dual_add_f32 v7, -1, v3
// GFX1250: v_dual_fma_f64 v[254:255], src_scc, v[4:5], v[10:11] :: v_dual_add_f32 v7, -1, v3 ; encoding: [0xfd,0x40,0x80,0xcf,0xc1,0x00,0x04,0x0a,0xfe,0x03,0x00,0x07]
// W64-ERR: :[[@LINE-2]]:1: error: instruction requires wavesize=32

v_dual_fma_f64 v[254:255], 0.5, v[8:9], v[10:11] :: v_dual_add_f32 v7, 0.5, v2
// GFX1250: v_dual_fma_f64 v[254:255], 0.5, v[8:9], v[10:11] :: v_dual_add_f32 v7, 0.5, v2 ; encoding: [0xf0,0x40,0x80,0xcf,0xf0,0x00,0x08,0x0a,0xfe,0x02,0x00,0x07]
// W64-ERR: :[[@LINE-2]]:1: error: instruction requires wavesize=32

v_dual_fma_f64 v[254:255], -1, v[6:7], v[10:11] :: v_dual_add_f32 v7, src_scc, v5
// GFX1250: v_dual_fma_f64 v[254:255], -1, v[6:7], v[10:11] :: v_dual_add_f32 v7, src_scc, v5 ; encoding: [0xc1,0x40,0x80,0xcf,0xfd,0x00,0x06,0x0a,0xfe,0x05,0x00,0x07]
// W64-ERR: :[[@LINE-2]]:1: error: instruction requires wavesize=32

v_dual_fma_f64 v[254:255], v[4:5], v[4:5], v[10:11] :: v_dual_add_nc_u32 v7, v2, v3
// GFX1250: v_dual_fma_f64 v[254:255], v[4:5], v[4:5], v[10:11] :: v_dual_add_nc_u32 v7, v2, v3 ; encoding: [0x04,0x01,0x81,0xcf,0x02,0x01,0x04,0x0a,0xfe,0x03,0x00,0x07]
// W64-ERR: :[[@LINE-2]]:1: error: instruction requires wavesize=32

v_dual_fma_f64 v[254:255], v[2:3], v[4:5], v[10:11] :: v_dual_add_nc_u32 v7, v253, v3
// GFX1250: v_dual_fma_f64 v[254:255], v[2:3], v[4:5], v[10:11] :: v_dual_add_nc_u32 v7, v253, v3 ; encoding: [0x02,0x01,0x81,0xcf,0xfd,0x01,0x04,0x0a,0xfe,0x03,0x00,0x07]
	;; [unrolled: 4-line block ×6, first 2 shown]
// W64-ERR: :[[@LINE-2]]:1: error: instruction requires wavesize=32

v_dual_fma_f64 v[254:255], ttmp[14:15], v[4:5], v[10:11] :: v_dual_add_nc_u32 v7, vcc_lo, v3
// GFX1250: v_dual_fma_f64 v[254:255], ttmp[14:15], v[4:5], v[10:11] :: v_dual_add_nc_u32 v7, vcc_lo, v3 ; encoding: [0x7a,0x00,0x81,0xcf,0x6a,0x00,0x04,0x0a,0xfe,0x03,0x00,0x07]
// W64-ERR: :[[@LINE-2]]:1: error: instruction requires wavesize=32

v_dual_fma_f64 v[254:255], exec, v[4:5], v[10:11] :: v_dual_add_nc_u32 v7, v15, v3
// GFX1250: v_dual_fma_f64 v[254:255], exec, v[4:5], v[10:11] :: v_dual_add_nc_u32 v7, v15, v3 ; encoding: [0x7e,0x00,0x81,0xcf,0x0f,0x01,0x04,0x0a,0xfe,0x03,0x00,0x07]
// W64-ERR: :[[@LINE-2]]:1: error: instruction requires wavesize=32

v_dual_fma_f64 v[254:255], vcc, v[4:5], v[10:11] :: v_dual_add_nc_u32 v7, exec_hi, v3
// GFX1250: v_dual_fma_f64 v[254:255], vcc, v[4:5], v[10:11] :: v_dual_add_nc_u32 v7, exec_hi, v3 ; encoding: [0x6a,0x00,0x81,0xcf,0x7f,0x00,0x04,0x0a,0xfe,0x03,0x00,0x07]
// W64-ERR: :[[@LINE-2]]:1: error: instruction requires wavesize=32

v_dual_fma_f64 v[254:255], src_scc, v[4:5], v[10:11] :: v_dual_add_nc_u32 v7, -1, v3
// GFX1250: v_dual_fma_f64 v[254:255], src_scc, v[4:5], v[10:11] :: v_dual_add_nc_u32 v7, -1, v3 ; encoding: [0xfd,0x00,0x81,0xcf,0xc1,0x00,0x04,0x0a,0xfe,0x03,0x00,0x07]
// W64-ERR: :[[@LINE-2]]:1: error: instruction requires wavesize=32

v_dual_fma_f64 v[254:255], 0.5, v[8:9], v[10:11] :: v_dual_add_nc_u32 v7, 0.5, v2
// GFX1250: v_dual_fma_f64 v[254:255], 0.5, v[8:9], v[10:11] :: v_dual_add_nc_u32 v7, 0.5, v2 ; encoding: [0xf0,0x00,0x81,0xcf,0xf0,0x00,0x08,0x0a,0xfe,0x02,0x00,0x07]
// W64-ERR: :[[@LINE-2]]:1: error: instruction requires wavesize=32

v_dual_fma_f64 v[254:255], -1, v[6:7], v[10:11] :: v_dual_add_nc_u32 v7, src_scc, v5
// GFX1250: v_dual_fma_f64 v[254:255], -1, v[6:7], v[10:11] :: v_dual_add_nc_u32 v7, src_scc, v5 ; encoding: [0xc1,0x00,0x81,0xcf,0xfd,0x00,0x06,0x0a,0xfe,0x05,0x00,0x07]
// W64-ERR: :[[@LINE-2]]:1: error: instruction requires wavesize=32

v_dual_fma_f64 v[254:255], v[4:5], v[4:5], v[10:11] :: v_dual_cndmask_b32 v7, v2, v3, vcc_lo
// GFX1250: v_dual_fma_f64 v[254:255], v[4:5], v[4:5], v[10:11] :: v_dual_cndmask_b32 v7, v2, v3, vcc_lo ; encoding: [0x04,0x91,0x80,0xcf,0x02,0x01,0x04,0x0a,0xfe,0x03,0x6a,0x07]
// W64-ERR: :[[@LINE-2]]:1: error: instruction requires wavesize=32

v_dual_fma_f64 v[254:255], v[2:3], v[4:5], v[10:11] :: v_dual_cndmask_b32 v7, v253, v3, vcc_lo
// GFX1250: v_dual_fma_f64 v[254:255], v[2:3], v[4:5], v[10:11] :: v_dual_cndmask_b32 v7, v253, v3, vcc_lo ; encoding: [0x02,0x91,0x80,0xcf,0xfd,0x01,0x04,0x0a,0xfe,0x03,0x6a,0x07]
	;; [unrolled: 4-line block ×6, first 2 shown]
// W64-ERR: :[[@LINE-2]]:1: error: instruction requires wavesize=32

v_dual_fma_f64 v[254:255], ttmp[14:15], v[4:5], v[10:11] :: v_dual_cndmask_b32 v7, v15, v3, vcc_lo
// GFX1250: v_dual_fma_f64 v[254:255], ttmp[14:15], v[4:5], v[10:11] :: v_dual_cndmask_b32 v7, v15, v3, vcc_lo ; encoding: [0x7a,0x90,0x80,0xcf,0x0f,0x01,0x04,0x0a,0xfe,0x03,0x6a,0x07]
// W64-ERR: :[[@LINE-2]]:1: error: instruction requires wavesize=32

v_dual_fma_f64 v[254:255], exec, v[4:5], v[10:11] :: v_dual_cndmask_b32 v7, v10, v3, vcc_lo
// GFX1250: v_dual_fma_f64 v[254:255], exec, v[4:5], v[10:11] :: v_dual_cndmask_b32 v7, v10, v3, vcc_lo ; encoding: [0x7e,0x90,0x80,0xcf,0x0a,0x01,0x04,0x0a,0xfe,0x03,0x6a,0x07]
// W64-ERR: :[[@LINE-2]]:1: error: instruction requires wavesize=32

v_dual_fma_f64 v[254:255], vcc, v[4:5], v[10:11] :: v_dual_cndmask_b32 v7, vcc_lo, v3, vcc_lo
// GFX1250: v_dual_fma_f64 v[254:255], vcc, v[4:5], v[10:11] :: v_dual_cndmask_b32 v7, vcc_lo, v3, vcc_lo ; encoding: [0x6a,0x90,0x80,0xcf,0x6a,0x00,0x04,0x0a,0xfe,0x03,0x6a,0x07]
// W64-ERR: :[[@LINE-2]]:1: error: instruction requires wavesize=32

v_dual_fma_f64 v[254:255], src_scc, v[4:5], v[10:11] :: v_dual_cndmask_b32 v7, -1, v3, vcc_lo
// GFX1250: v_dual_fma_f64 v[254:255], src_scc, v[4:5], v[10:11] :: v_dual_cndmask_b32 v7, -1, v3, vcc_lo ; encoding: [0xfd,0x90,0x80,0xcf,0xc1,0x00,0x04,0x0a,0xfe,0x03,0x6a,0x07]
// W64-ERR: :[[@LINE-2]]:1: error: instruction requires wavesize=32

v_dual_fma_f64 v[254:255], 0.5, v[8:9], v[10:11] :: v_dual_cndmask_b32 v7, 0.5, v2, vcc_lo
// GFX1250: v_dual_fma_f64 v[254:255], 0.5, v[8:9], v[10:11] :: v_dual_cndmask_b32 v7, 0.5, v2, vcc_lo ; encoding: [0xf0,0x90,0x80,0xcf,0xf0,0x00,0x08,0x0a,0xfe,0x02,0x6a,0x07]
// W64-ERR: :[[@LINE-2]]:1: error: instruction requires wavesize=32

v_dual_fma_f64 v[254:255], -1, v[6:7], v[10:11] :: v_dual_cndmask_b32 v7, src_scc, v5, vcc_lo
// GFX1250: v_dual_fma_f64 v[254:255], -1, v[6:7], v[10:11] :: v_dual_cndmask_b32 v7, src_scc, v5, vcc_lo ; encoding: [0xc1,0x90,0x80,0xcf,0xfd,0x00,0x06,0x0a,0xfe,0x05,0x6a,0x07]
// W64-ERR: :[[@LINE-2]]:1: error: instruction requires wavesize=32

v_dual_fma_f64 v[254:255], v[4:5], v[4:5], v[10:11] :: v_dual_fmac_f32 v9, v2, v3
// GFX1250: v_dual_fma_f64 v[254:255], v[4:5], v[4:5], v[10:11] :: v_dual_fmac_f32 v9, v2, v3 ; encoding: [0x04,0x01,0x80,0xcf,0x02,0x01,0x04,0x0a,0xfe,0x03,0x00,0x09]
// W64-ERR: :[[@LINE-2]]:1: error: instruction requires wavesize=32

v_dual_fma_f64 v[254:255], v[2:3], v[4:5], v[10:11] :: v_dual_fmac_f32 v9, v253, v3
// GFX1250: v_dual_fma_f64 v[254:255], v[2:3], v[4:5], v[10:11] :: v_dual_fmac_f32 v9, v253, v3 ; encoding: [0x02,0x01,0x80,0xcf,0xfd,0x01,0x04,0x0a,0xfe,0x03,0x00,0x09]
	;; [unrolled: 4-line block ×6, first 2 shown]
// W64-ERR: :[[@LINE-2]]:1: error: instruction requires wavesize=32

v_dual_fma_f64 v[254:255], ttmp[14:15], v[4:5], v[10:11] :: v_dual_fmac_f32 v9, vcc_lo, v3
// GFX1250: v_dual_fma_f64 v[254:255], ttmp[14:15], v[4:5], v[10:11] :: v_dual_fmac_f32 v9, vcc_lo, v3 ; encoding: [0x7a,0x00,0x80,0xcf,0x6a,0x00,0x04,0x0a,0xfe,0x03,0x00,0x09]
// W64-ERR: :[[@LINE-2]]:1: error: instruction requires wavesize=32

v_dual_fma_f64 v[254:255], exec, v[4:5], v[10:11] :: v_dual_fmac_f32 v9, v15, v3
// GFX1250: v_dual_fma_f64 v[254:255], exec, v[4:5], v[10:11] :: v_dual_fmac_f32 v9, v15, v3 ; encoding: [0x7e,0x00,0x80,0xcf,0x0f,0x01,0x04,0x0a,0xfe,0x03,0x00,0x09]
// W64-ERR: :[[@LINE-2]]:1: error: instruction requires wavesize=32

v_dual_fma_f64 v[254:255], vcc, v[4:5], v[10:11] :: v_dual_fmac_f32 v9, exec_hi, v3
// GFX1250: v_dual_fma_f64 v[254:255], vcc, v[4:5], v[10:11] :: v_dual_fmac_f32 v9, exec_hi, v3 ; encoding: [0x6a,0x00,0x80,0xcf,0x7f,0x00,0x04,0x0a,0xfe,0x03,0x00,0x09]
// W64-ERR: :[[@LINE-2]]:1: error: instruction requires wavesize=32

v_dual_fma_f64 v[254:255], src_scc, v[4:5], v[10:11] :: v_dual_fmac_f32 v9, -1, v3
// GFX1250: v_dual_fma_f64 v[254:255], src_scc, v[4:5], v[10:11] :: v_dual_fmac_f32 v9, -1, v3 ; encoding: [0xfd,0x00,0x80,0xcf,0xc1,0x00,0x04,0x0a,0xfe,0x03,0x00,0x09]
// W64-ERR: :[[@LINE-2]]:1: error: instruction requires wavesize=32

v_dual_fma_f64 v[254:255], 0.5, v[8:9], v[10:11] :: v_dual_fmac_f32 v9, 0.5, v2
// GFX1250: v_dual_fma_f64 v[254:255], 0.5, v[8:9], v[10:11] :: v_dual_fmac_f32 v9, 0.5, v2 ; encoding: [0xf0,0x00,0x80,0xcf,0xf0,0x00,0x08,0x0a,0xfe,0x02,0x00,0x09]
// W64-ERR: :[[@LINE-2]]:1: error: instruction requires wavesize=32

v_dual_fma_f64 v[254:255], -1, v[6:7], v[10:11] :: v_dual_fmac_f32 v9, src_scc, v5
// GFX1250: v_dual_fma_f64 v[254:255], -1, v[6:7], v[10:11] :: v_dual_fmac_f32 v9, src_scc, v5 ; encoding: [0xc1,0x00,0x80,0xcf,0xfd,0x00,0x06,0x0a,0xfe,0x05,0x00,0x09]
// W64-ERR: :[[@LINE-2]]:1: error: instruction requires wavesize=32

v_dual_fma_f64 v[254:255], v[4:5], v[4:5], v[10:11] :: v_dual_lshlrev_b32 v7, v2, v3
// GFX1250: v_dual_fma_f64 v[254:255], v[4:5], v[4:5], v[10:11] :: v_dual_lshlrev_b32 v7, v2, v3 ; encoding: [0x04,0x11,0x81,0xcf,0x02,0x01,0x04,0x0a,0xfe,0x03,0x00,0x07]
// W64-ERR: :[[@LINE-2]]:1: error: instruction requires wavesize=32

v_dual_fma_f64 v[254:255], v[2:3], v[4:5], v[10:11] :: v_dual_lshlrev_b32 v7, v253, v3
// GFX1250: v_dual_fma_f64 v[254:255], v[2:3], v[4:5], v[10:11] :: v_dual_lshlrev_b32 v7, v253, v3 ; encoding: [0x02,0x11,0x81,0xcf,0xfd,0x01,0x04,0x0a,0xfe,0x03,0x00,0x07]
	;; [unrolled: 4-line block ×6, first 2 shown]
// W64-ERR: :[[@LINE-2]]:1: error: instruction requires wavesize=32

v_dual_fma_f64 v[254:255], ttmp[14:15], v[4:5], v[10:11] :: v_dual_lshlrev_b32 v7, vcc_lo, v3
// GFX1250: v_dual_fma_f64 v[254:255], ttmp[14:15], v[4:5], v[10:11] :: v_dual_lshlrev_b32 v7, vcc_lo, v3 ; encoding: [0x7a,0x10,0x81,0xcf,0x6a,0x00,0x04,0x0a,0xfe,0x03,0x00,0x07]
// W64-ERR: :[[@LINE-2]]:1: error: instruction requires wavesize=32

v_dual_fma_f64 v[254:255], exec, v[4:5], v[10:11] :: v_dual_lshlrev_b32 v7, v15, v3
// GFX1250: v_dual_fma_f64 v[254:255], exec, v[4:5], v[10:11] :: v_dual_lshlrev_b32 v7, v15, v3 ; encoding: [0x7e,0x10,0x81,0xcf,0x0f,0x01,0x04,0x0a,0xfe,0x03,0x00,0x07]
// W64-ERR: :[[@LINE-2]]:1: error: instruction requires wavesize=32

v_dual_fma_f64 v[254:255], vcc, v[4:5], v[10:11] :: v_dual_lshlrev_b32 v7, exec_hi, v3
// GFX1250: v_dual_fma_f64 v[254:255], vcc, v[4:5], v[10:11] :: v_dual_lshlrev_b32 v7, exec_hi, v3 ; encoding: [0x6a,0x10,0x81,0xcf,0x7f,0x00,0x04,0x0a,0xfe,0x03,0x00,0x07]
// W64-ERR: :[[@LINE-2]]:1: error: instruction requires wavesize=32

v_dual_fma_f64 v[254:255], src_scc, v[4:5], v[10:11] :: v_dual_lshlrev_b32 v7, -1, v3
// GFX1250: v_dual_fma_f64 v[254:255], src_scc, v[4:5], v[10:11] :: v_dual_lshlrev_b32 v7, -1, v3 ; encoding: [0xfd,0x10,0x81,0xcf,0xc1,0x00,0x04,0x0a,0xfe,0x03,0x00,0x07]
// W64-ERR: :[[@LINE-2]]:1: error: instruction requires wavesize=32

v_dual_fma_f64 v[254:255], 0.5, v[8:9], v[10:11] :: v_dual_lshlrev_b32 v7, 0.5, v2
// GFX1250: v_dual_fma_f64 v[254:255], 0.5, v[8:9], v[10:11] :: v_dual_lshlrev_b32 v7, 0.5, v2 ; encoding: [0xf0,0x10,0x81,0xcf,0xf0,0x00,0x08,0x0a,0xfe,0x02,0x00,0x07]
// W64-ERR: :[[@LINE-2]]:1: error: instruction requires wavesize=32

v_dual_fma_f64 v[254:255], -1, v[6:7], v[10:11] :: v_dual_lshlrev_b32 v7, src_scc, v5
// GFX1250: v_dual_fma_f64 v[254:255], -1, v[6:7], v[10:11] :: v_dual_lshlrev_b32 v7, src_scc, v5 ; encoding: [0xc1,0x10,0x81,0xcf,0xfd,0x00,0x06,0x0a,0xfe,0x05,0x00,0x07]
// W64-ERR: :[[@LINE-2]]:1: error: instruction requires wavesize=32

v_dual_fma_f64 v[254:255], v[4:5], v[4:5], v[10:11] :: v_dual_max_num_f32 v7, v2, v3
// GFX1250: v_dual_fma_f64 v[254:255], v[4:5], v[4:5], v[10:11] :: v_dual_max_num_f32 v7, v2, v3 ; encoding: [0x04,0xa1,0x80,0xcf,0x02,0x01,0x04,0x0a,0xfe,0x03,0x00,0x07]
// W64-ERR: :[[@LINE-2]]:1: error: instruction requires wavesize=32

v_dual_fma_f64 v[254:255], v[2:3], v[4:5], v[10:11] :: v_dual_max_num_f32 v7, v253, v3
// GFX1250: v_dual_fma_f64 v[254:255], v[2:3], v[4:5], v[10:11] :: v_dual_max_num_f32 v7, v253, v3 ; encoding: [0x02,0xa1,0x80,0xcf,0xfd,0x01,0x04,0x0a,0xfe,0x03,0x00,0x07]
	;; [unrolled: 4-line block ×6, first 2 shown]
// W64-ERR: :[[@LINE-2]]:1: error: instruction requires wavesize=32

v_dual_fma_f64 v[254:255], ttmp[14:15], v[4:5], v[10:11] :: v_dual_max_num_f32 v7, vcc_lo, v3
// GFX1250: v_dual_fma_f64 v[254:255], ttmp[14:15], v[4:5], v[10:11] :: v_dual_max_num_f32 v7, vcc_lo, v3 ; encoding: [0x7a,0xa0,0x80,0xcf,0x6a,0x00,0x04,0x0a,0xfe,0x03,0x00,0x07]
// W64-ERR: :[[@LINE-2]]:1: error: instruction requires wavesize=32

v_dual_fma_f64 v[254:255], exec, v[4:5], v[10:11] :: v_dual_max_num_f32 v7, v15, v3
// GFX1250: v_dual_fma_f64 v[254:255], exec, v[4:5], v[10:11] :: v_dual_max_num_f32 v7, v15, v3 ; encoding: [0x7e,0xa0,0x80,0xcf,0x0f,0x01,0x04,0x0a,0xfe,0x03,0x00,0x07]
// W64-ERR: :[[@LINE-2]]:1: error: instruction requires wavesize=32

v_dual_fma_f64 v[254:255], vcc, v[4:5], v[10:11] :: v_dual_max_num_f32 v7, exec_hi, v3
// GFX1250: v_dual_fma_f64 v[254:255], vcc, v[4:5], v[10:11] :: v_dual_max_num_f32 v7, exec_hi, v3 ; encoding: [0x6a,0xa0,0x80,0xcf,0x7f,0x00,0x04,0x0a,0xfe,0x03,0x00,0x07]
// W64-ERR: :[[@LINE-2]]:1: error: instruction requires wavesize=32

v_dual_fma_f64 v[254:255], src_scc, v[4:5], v[10:11] :: v_dual_max_num_f32 v7, -1, v3
// GFX1250: v_dual_fma_f64 v[254:255], src_scc, v[4:5], v[10:11] :: v_dual_max_num_f32 v7, -1, v3 ; encoding: [0xfd,0xa0,0x80,0xcf,0xc1,0x00,0x04,0x0a,0xfe,0x03,0x00,0x07]
// W64-ERR: :[[@LINE-2]]:1: error: instruction requires wavesize=32

v_dual_fma_f64 v[254:255], 0.5, v[8:9], v[10:11] :: v_dual_max_num_f32 v7, 0.5, v2
// GFX1250: v_dual_fma_f64 v[254:255], 0.5, v[8:9], v[10:11] :: v_dual_max_num_f32 v7, 0.5, v2 ; encoding: [0xf0,0xa0,0x80,0xcf,0xf0,0x00,0x08,0x0a,0xfe,0x02,0x00,0x07]
// W64-ERR: :[[@LINE-2]]:1: error: instruction requires wavesize=32

v_dual_fma_f64 v[254:255], -1, v[6:7], v[10:11] :: v_dual_max_num_f32 v7, src_scc, v5
// GFX1250: v_dual_fma_f64 v[254:255], -1, v[6:7], v[10:11] :: v_dual_max_num_f32 v7, src_scc, v5 ; encoding: [0xc1,0xa0,0x80,0xcf,0xfd,0x00,0x06,0x0a,0xfe,0x05,0x00,0x07]
// W64-ERR: :[[@LINE-2]]:1: error: instruction requires wavesize=32

v_dual_fma_f64 v[254:255], v[4:5], v[4:5], v[10:11] :: v_dual_min_num_f32 v7, v2, v3
// GFX1250: v_dual_fma_f64 v[254:255], v[4:5], v[4:5], v[10:11] :: v_dual_min_num_f32 v7, v2, v3 ; encoding: [0x04,0xb1,0x80,0xcf,0x02,0x01,0x04,0x0a,0xfe,0x03,0x00,0x07]
// W64-ERR: :[[@LINE-2]]:1: error: instruction requires wavesize=32

v_dual_fma_f64 v[254:255], v[2:3], v[4:5], v[10:11] :: v_dual_min_num_f32 v7, v253, v3
// GFX1250: v_dual_fma_f64 v[254:255], v[2:3], v[4:5], v[10:11] :: v_dual_min_num_f32 v7, v253, v3 ; encoding: [0x02,0xb1,0x80,0xcf,0xfd,0x01,0x04,0x0a,0xfe,0x03,0x00,0x07]
	;; [unrolled: 4-line block ×6, first 2 shown]
// W64-ERR: :[[@LINE-2]]:1: error: instruction requires wavesize=32

v_dual_fma_f64 v[254:255], ttmp[14:15], v[4:5], v[10:11] :: v_dual_min_num_f32 v7, vcc_lo, v3
// GFX1250: v_dual_fma_f64 v[254:255], ttmp[14:15], v[4:5], v[10:11] :: v_dual_min_num_f32 v7, vcc_lo, v3 ; encoding: [0x7a,0xb0,0x80,0xcf,0x6a,0x00,0x04,0x0a,0xfe,0x03,0x00,0x07]
// W64-ERR: :[[@LINE-2]]:1: error: instruction requires wavesize=32

v_dual_fma_f64 v[254:255], exec, v[4:5], v[10:11] :: v_dual_min_num_f32 v7, v15, v3
// GFX1250: v_dual_fma_f64 v[254:255], exec, v[4:5], v[10:11] :: v_dual_min_num_f32 v7, v15, v3 ; encoding: [0x7e,0xb0,0x80,0xcf,0x0f,0x01,0x04,0x0a,0xfe,0x03,0x00,0x07]
// W64-ERR: :[[@LINE-2]]:1: error: instruction requires wavesize=32

v_dual_fma_f64 v[254:255], vcc, v[4:5], v[10:11] :: v_dual_min_num_f32 v7, exec_hi, v3
// GFX1250: v_dual_fma_f64 v[254:255], vcc, v[4:5], v[10:11] :: v_dual_min_num_f32 v7, exec_hi, v3 ; encoding: [0x6a,0xb0,0x80,0xcf,0x7f,0x00,0x04,0x0a,0xfe,0x03,0x00,0x07]
// W64-ERR: :[[@LINE-2]]:1: error: instruction requires wavesize=32

v_dual_fma_f64 v[254:255], src_scc, v[4:5], v[10:11] :: v_dual_min_num_f32 v7, -1, v3
// GFX1250: v_dual_fma_f64 v[254:255], src_scc, v[4:5], v[10:11] :: v_dual_min_num_f32 v7, -1, v3 ; encoding: [0xfd,0xb0,0x80,0xcf,0xc1,0x00,0x04,0x0a,0xfe,0x03,0x00,0x07]
// W64-ERR: :[[@LINE-2]]:1: error: instruction requires wavesize=32

v_dual_fma_f64 v[254:255], 0.5, v[8:9], v[10:11] :: v_dual_min_num_f32 v7, 0.5, v2
// GFX1250: v_dual_fma_f64 v[254:255], 0.5, v[8:9], v[10:11] :: v_dual_min_num_f32 v7, 0.5, v2 ; encoding: [0xf0,0xb0,0x80,0xcf,0xf0,0x00,0x08,0x0a,0xfe,0x02,0x00,0x07]
// W64-ERR: :[[@LINE-2]]:1: error: instruction requires wavesize=32

v_dual_fma_f64 v[254:255], -1, v[6:7], v[10:11] :: v_dual_min_num_f32 v7, src_scc, v5
// GFX1250: v_dual_fma_f64 v[254:255], -1, v[6:7], v[10:11] :: v_dual_min_num_f32 v7, src_scc, v5 ; encoding: [0xc1,0xb0,0x80,0xcf,0xfd,0x00,0x06,0x0a,0xfe,0x05,0x00,0x07]
// W64-ERR: :[[@LINE-2]]:1: error: instruction requires wavesize=32

v_dual_fma_f64 v[254:255], v[4:5], v[254:255], v[10:11] :: v_dual_mov_b32 v7, v3
// GFX1250: v_dual_fma_f64 v[254:255], v[4:5], v[254:255], v[10:11] :: v_dual_mov_b32 v7, v3 ; encoding: [0x04,0x81,0x80,0xcf,0x03,0x01,0xfe,0x0a,0xfe,0x00,0x00,0x07]
// W64-ERR: :[[@LINE-2]]:1: error: instruction requires wavesize=32

v_dual_fma_f64 v[254:255], v[2:3], v[254:255], v[10:11] :: v_dual_mov_b32 v7, v253
// GFX1250: v_dual_fma_f64 v[254:255], v[2:3], v[254:255], v[10:11] :: v_dual_mov_b32 v7, v253 ; encoding: [0x02,0x81,0x80,0xcf,0xfd,0x01,0xfe,0x0a,0xfe,0x00,0x00,0x07]
	;; [unrolled: 4-line block ×7, first 2 shown]
// W64-ERR: :[[@LINE-2]]:1: error: instruction requires wavesize=32

v_dual_fma_f64 v[254:255], ttmp[14:15], v[254:255], v[10:11] :: v_dual_mov_b32 v7, vcc_lo
// GFX1250: v_dual_fma_f64 v[254:255], ttmp[14:15], v[254:255], v[10:11] :: v_dual_mov_b32 v7, vcc_lo ; encoding: [0x7a,0x80,0x80,0xcf,0x6a,0x00,0xfe,0x0a,0xfe,0x00,0x00,0x07]
// W64-ERR: :[[@LINE-2]]:1: error: instruction requires wavesize=32

v_dual_fma_f64 v[254:255], exec, v[254:255], v[10:11] :: v_dual_mov_b32 v7, ttmp15
// GFX1250: v_dual_fma_f64 v[254:255], exec, v[254:255], v[10:11] :: v_dual_mov_b32 v7, ttmp15 ; encoding: [0x7e,0x80,0x80,0xcf,0x7b,0x00,0xfe,0x0a,0xfe,0x00,0x00,0x07]
// W64-ERR: :[[@LINE-2]]:1: error: instruction requires wavesize=32

v_dual_fma_f64 v[254:255], vcc, v[254:255], v[10:11] :: v_dual_mov_b32 v7, exec_hi
// GFX1250: v_dual_fma_f64 v[254:255], vcc, v[254:255], v[10:11] :: v_dual_mov_b32 v7, exec_hi ; encoding: [0x6a,0x80,0x80,0xcf,0x7f,0x00,0xfe,0x0a,0xfe,0x00,0x00,0x07]
// W64-ERR: :[[@LINE-2]]:1: error: instruction requires wavesize=32

v_dual_fma_f64 v[254:255], src_scc, v[254:255], v[10:11] :: v_dual_mov_b32 v7, -1
// GFX1250: v_dual_fma_f64 v[254:255], src_scc, v[254:255], v[10:11] :: v_dual_mov_b32 v7, -1 ; encoding: [0xfd,0x80,0x80,0xcf,0xc1,0x00,0xfe,0x0a,0xfe,0x00,0x00,0x07]
// W64-ERR: :[[@LINE-2]]:1: error: instruction requires wavesize=32

v_dual_fma_f64 v[254:255], 0.5, v[8:9], v[10:11] :: v_dual_mov_b32 v7, 0.5
// GFX1250: v_dual_fma_f64 v[254:255], 0.5, v[8:9], v[10:11] :: v_dual_mov_b32 v7, 0.5 ; encoding: [0xf0,0x80,0x80,0xcf,0xf0,0x00,0x08,0x0a,0xfe,0x00,0x00,0x07]
// W64-ERR: :[[@LINE-2]]:1: error: instruction requires wavesize=32

v_dual_fma_f64 v[254:255], -1, v[6:7], v[10:11] :: v_dual_mov_b32 v7, src_scc
// GFX1250: v_dual_fma_f64 v[254:255], -1, v[6:7], v[10:11] :: v_dual_mov_b32 v7, src_scc ; encoding: [0xc1,0x80,0x80,0xcf,0xfd,0x00,0x06,0x0a,0xfe,0x00,0x00,0x07]
// W64-ERR: :[[@LINE-2]]:1: error: instruction requires wavesize=32

v_dual_fma_f64 v[254:255], v[4:5], v[4:5], v[10:11] :: v_dual_mul_dx9_zero_f32 v7, v2, v3
// GFX1250: v_dual_fma_f64 v[254:255], v[4:5], v[4:5], v[10:11] :: v_dual_mul_dx9_zero_f32 v7, v2, v3 ; encoding: [0x04,0x71,0x80,0xcf,0x02,0x01,0x04,0x0a,0xfe,0x03,0x00,0x07]
// W64-ERR: :[[@LINE-2]]:1: error: instruction requires wavesize=32

v_dual_fma_f64 v[254:255], v[2:3], v[4:5], v[10:11] :: v_dual_mul_dx9_zero_f32 v7, v253, v3
// GFX1250: v_dual_fma_f64 v[254:255], v[2:3], v[4:5], v[10:11] :: v_dual_mul_dx9_zero_f32 v7, v253, v3 ; encoding: [0x02,0x71,0x80,0xcf,0xfd,0x01,0x04,0x0a,0xfe,0x03,0x00,0x07]
	;; [unrolled: 4-line block ×6, first 2 shown]
// W64-ERR: :[[@LINE-2]]:1: error: instruction requires wavesize=32

v_dual_fma_f64 v[254:255], ttmp[14:15], v[4:5], v[10:11] :: v_dual_mul_dx9_zero_f32 v7, vcc_lo, v3
// GFX1250: v_dual_fma_f64 v[254:255], ttmp[14:15], v[4:5], v[10:11] :: v_dual_mul_dx9_zero_f32 v7, vcc_lo, v3 ; encoding: [0x7a,0x70,0x80,0xcf,0x6a,0x00,0x04,0x0a,0xfe,0x03,0x00,0x07]
// W64-ERR: :[[@LINE-2]]:1: error: instruction requires wavesize=32

v_dual_fma_f64 v[254:255], exec, v[4:5], v[10:11] :: v_dual_mul_dx9_zero_f32 v7, v15, v3
// GFX1250: v_dual_fma_f64 v[254:255], exec, v[4:5], v[10:11] :: v_dual_mul_dx9_zero_f32 v7, v15, v3 ; encoding: [0x7e,0x70,0x80,0xcf,0x0f,0x01,0x04,0x0a,0xfe,0x03,0x00,0x07]
// W64-ERR: :[[@LINE-2]]:1: error: instruction requires wavesize=32

v_dual_fma_f64 v[254:255], vcc, v[4:5], v[10:11] :: v_dual_mul_dx9_zero_f32 v7, exec_hi, v3
// GFX1250: v_dual_fma_f64 v[254:255], vcc, v[4:5], v[10:11] :: v_dual_mul_dx9_zero_f32 v7, exec_hi, v3 ; encoding: [0x6a,0x70,0x80,0xcf,0x7f,0x00,0x04,0x0a,0xfe,0x03,0x00,0x07]
// W64-ERR: :[[@LINE-2]]:1: error: instruction requires wavesize=32

v_dual_fma_f64 v[254:255], src_scc, v[4:5], v[10:11] :: v_dual_mul_dx9_zero_f32 v7, -1, v3
// GFX1250: v_dual_fma_f64 v[254:255], src_scc, v[4:5], v[10:11] :: v_dual_mul_dx9_zero_f32 v7, -1, v3 ; encoding: [0xfd,0x70,0x80,0xcf,0xc1,0x00,0x04,0x0a,0xfe,0x03,0x00,0x07]
// W64-ERR: :[[@LINE-2]]:1: error: instruction requires wavesize=32

v_dual_fma_f64 v[254:255], 0.5, v[8:9], v[10:11] :: v_dual_mul_dx9_zero_f32 v7, 0.5, v2
// GFX1250: v_dual_fma_f64 v[254:255], 0.5, v[8:9], v[10:11] :: v_dual_mul_dx9_zero_f32 v7, 0.5, v2 ; encoding: [0xf0,0x70,0x80,0xcf,0xf0,0x00,0x08,0x0a,0xfe,0x02,0x00,0x07]
// W64-ERR: :[[@LINE-2]]:1: error: instruction requires wavesize=32

v_dual_fma_f64 v[254:255], -1, v[6:7], v[10:11] :: v_dual_mul_dx9_zero_f32 v7, src_scc, v5
// GFX1250: v_dual_fma_f64 v[254:255], -1, v[6:7], v[10:11] :: v_dual_mul_dx9_zero_f32 v7, src_scc, v5 ; encoding: [0xc1,0x70,0x80,0xcf,0xfd,0x00,0x06,0x0a,0xfe,0x05,0x00,0x07]
// W64-ERR: :[[@LINE-2]]:1: error: instruction requires wavesize=32

v_dual_fma_f64 v[254:255], v[4:5], v[4:5], v[10:11] :: v_dual_mul_f32 v7, v2, v3
// GFX1250: v_dual_fma_f64 v[254:255], v[4:5], v[4:5], v[10:11] :: v_dual_mul_f32 v7, v2, v3 ; encoding: [0x04,0x31,0x80,0xcf,0x02,0x01,0x04,0x0a,0xfe,0x03,0x00,0x07]
// W64-ERR: :[[@LINE-2]]:1: error: instruction requires wavesize=32

v_dual_fma_f64 v[254:255], v[2:3], v[4:5], v[10:11] :: v_dual_mul_f32 v7, v253, v3
// GFX1250: v_dual_fma_f64 v[254:255], v[2:3], v[4:5], v[10:11] :: v_dual_mul_f32 v7, v253, v3 ; encoding: [0x02,0x31,0x80,0xcf,0xfd,0x01,0x04,0x0a,0xfe,0x03,0x00,0x07]
	;; [unrolled: 4-line block ×6, first 2 shown]
// W64-ERR: :[[@LINE-2]]:1: error: instruction requires wavesize=32

v_dual_fma_f64 v[254:255], ttmp[14:15], v[4:5], v[10:11] :: v_dual_mul_f32 v7, vcc_lo, v3
// GFX1250: v_dual_fma_f64 v[254:255], ttmp[14:15], v[4:5], v[10:11] :: v_dual_mul_f32 v7, vcc_lo, v3 ; encoding: [0x7a,0x30,0x80,0xcf,0x6a,0x00,0x04,0x0a,0xfe,0x03,0x00,0x07]
// W64-ERR: :[[@LINE-2]]:1: error: instruction requires wavesize=32

v_dual_fma_f64 v[254:255], exec, v[4:5], v[10:11] :: v_dual_mul_f32 v7, v15, v3
// GFX1250: v_dual_fma_f64 v[254:255], exec, v[4:5], v[10:11] :: v_dual_mul_f32 v7, v15, v3 ; encoding: [0x7e,0x30,0x80,0xcf,0x0f,0x01,0x04,0x0a,0xfe,0x03,0x00,0x07]
// W64-ERR: :[[@LINE-2]]:1: error: instruction requires wavesize=32

v_dual_fma_f64 v[254:255], vcc, v[4:5], v[10:11] :: v_dual_mul_f32 v7, exec_hi, v3
// GFX1250: v_dual_fma_f64 v[254:255], vcc, v[4:5], v[10:11] :: v_dual_mul_f32 v7, exec_hi, v3 ; encoding: [0x6a,0x30,0x80,0xcf,0x7f,0x00,0x04,0x0a,0xfe,0x03,0x00,0x07]
// W64-ERR: :[[@LINE-2]]:1: error: instruction requires wavesize=32

v_dual_fma_f64 v[254:255], src_scc, v[4:5], v[10:11] :: v_dual_mul_f32 v7, -1, v3
// GFX1250: v_dual_fma_f64 v[254:255], src_scc, v[4:5], v[10:11] :: v_dual_mul_f32 v7, -1, v3 ; encoding: [0xfd,0x30,0x80,0xcf,0xc1,0x00,0x04,0x0a,0xfe,0x03,0x00,0x07]
// W64-ERR: :[[@LINE-2]]:1: error: instruction requires wavesize=32

v_dual_fma_f64 v[254:255], 0.5, v[8:9], v[10:11] :: v_dual_mul_f32 v7, 0.5, v2
// GFX1250: v_dual_fma_f64 v[254:255], 0.5, v[8:9], v[10:11] :: v_dual_mul_f32 v7, 0.5, v2 ; encoding: [0xf0,0x30,0x80,0xcf,0xf0,0x00,0x08,0x0a,0xfe,0x02,0x00,0x07]
// W64-ERR: :[[@LINE-2]]:1: error: instruction requires wavesize=32

v_dual_fma_f64 v[254:255], -1, v[6:7], v[10:11] :: v_dual_mul_f32 v7, src_scc, v5
// GFX1250: v_dual_fma_f64 v[254:255], -1, v[6:7], v[10:11] :: v_dual_mul_f32 v7, src_scc, v5 ; encoding: [0xc1,0x30,0x80,0xcf,0xfd,0x00,0x06,0x0a,0xfe,0x05,0x00,0x07]
// W64-ERR: :[[@LINE-2]]:1: error: instruction requires wavesize=32

v_dual_fma_f64 v[254:255], v[4:5], v[4:5], v[10:11] :: v_dual_sub_f32 v7, v2, v3
// GFX1250: v_dual_fma_f64 v[254:255], v[4:5], v[4:5], v[10:11] :: v_dual_sub_f32 v7, v2, v3 ; encoding: [0x04,0x51,0x80,0xcf,0x02,0x01,0x04,0x0a,0xfe,0x03,0x00,0x07]
// W64-ERR: :[[@LINE-2]]:1: error: instruction requires wavesize=32

v_dual_fma_f64 v[254:255], v[2:3], v[4:5], v[10:11] :: v_dual_sub_f32 v7, v253, v3
// GFX1250: v_dual_fma_f64 v[254:255], v[2:3], v[4:5], v[10:11] :: v_dual_sub_f32 v7, v253, v3 ; encoding: [0x02,0x51,0x80,0xcf,0xfd,0x01,0x04,0x0a,0xfe,0x03,0x00,0x07]
	;; [unrolled: 4-line block ×6, first 2 shown]
// W64-ERR: :[[@LINE-2]]:1: error: instruction requires wavesize=32

v_dual_fma_f64 v[254:255], ttmp[14:15], v[4:5], v[10:11] :: v_dual_sub_f32 v7, vcc_lo, v3
// GFX1250: v_dual_fma_f64 v[254:255], ttmp[14:15], v[4:5], v[10:11] :: v_dual_sub_f32 v7, vcc_lo, v3 ; encoding: [0x7a,0x50,0x80,0xcf,0x6a,0x00,0x04,0x0a,0xfe,0x03,0x00,0x07]
// W64-ERR: :[[@LINE-2]]:1: error: instruction requires wavesize=32

v_dual_fma_f64 v[254:255], exec, v[4:5], v[10:11] :: v_dual_sub_f32 v7, v15, v3
// GFX1250: v_dual_fma_f64 v[254:255], exec, v[4:5], v[10:11] :: v_dual_sub_f32 v7, v15, v3 ; encoding: [0x7e,0x50,0x80,0xcf,0x0f,0x01,0x04,0x0a,0xfe,0x03,0x00,0x07]
// W64-ERR: :[[@LINE-2]]:1: error: instruction requires wavesize=32

v_dual_fma_f64 v[254:255], vcc, v[4:5], v[10:11] :: v_dual_sub_f32 v7, exec_hi, v3
// GFX1250: v_dual_fma_f64 v[254:255], vcc, v[4:5], v[10:11] :: v_dual_sub_f32 v7, exec_hi, v3 ; encoding: [0x6a,0x50,0x80,0xcf,0x7f,0x00,0x04,0x0a,0xfe,0x03,0x00,0x07]
// W64-ERR: :[[@LINE-2]]:1: error: instruction requires wavesize=32

v_dual_fma_f64 v[254:255], src_scc, v[4:5], v[10:11] :: v_dual_sub_f32 v7, -1, v3
// GFX1250: v_dual_fma_f64 v[254:255], src_scc, v[4:5], v[10:11] :: v_dual_sub_f32 v7, -1, v3 ; encoding: [0xfd,0x50,0x80,0xcf,0xc1,0x00,0x04,0x0a,0xfe,0x03,0x00,0x07]
// W64-ERR: :[[@LINE-2]]:1: error: instruction requires wavesize=32

v_dual_fma_f64 v[254:255], 0.5, v[8:9], v[10:11] :: v_dual_sub_f32 v7, 0.5, v2
// GFX1250: v_dual_fma_f64 v[254:255], 0.5, v[8:9], v[10:11] :: v_dual_sub_f32 v7, 0.5, v2 ; encoding: [0xf0,0x50,0x80,0xcf,0xf0,0x00,0x08,0x0a,0xfe,0x02,0x00,0x07]
// W64-ERR: :[[@LINE-2]]:1: error: instruction requires wavesize=32

v_dual_fma_f64 v[254:255], -1, v[6:7], v[10:11] :: v_dual_sub_f32 v7, src_scc, v5
// GFX1250: v_dual_fma_f64 v[254:255], -1, v[6:7], v[10:11] :: v_dual_sub_f32 v7, src_scc, v5 ; encoding: [0xc1,0x50,0x80,0xcf,0xfd,0x00,0x06,0x0a,0xfe,0x05,0x00,0x07]
// W64-ERR: :[[@LINE-2]]:1: error: instruction requires wavesize=32

v_dual_fma_f64 v[254:255], v[4:5], v[4:5], v[10:11] :: v_dual_subrev_f32 v7, v2, v3
// GFX1250: v_dual_fma_f64 v[254:255], v[4:5], v[4:5], v[10:11] :: v_dual_subrev_f32 v7, v2, v3 ; encoding: [0x04,0x61,0x80,0xcf,0x02,0x01,0x04,0x0a,0xfe,0x03,0x00,0x07]
// W64-ERR: :[[@LINE-2]]:1: error: instruction requires wavesize=32

v_dual_fma_f64 v[254:255], v[2:3], v[4:5], v[10:11] :: v_dual_subrev_f32 v7, v253, v3
// GFX1250: v_dual_fma_f64 v[254:255], v[2:3], v[4:5], v[10:11] :: v_dual_subrev_f32 v7, v253, v3 ; encoding: [0x02,0x61,0x80,0xcf,0xfd,0x01,0x04,0x0a,0xfe,0x03,0x00,0x07]
	;; [unrolled: 4-line block ×6, first 2 shown]
// W64-ERR: :[[@LINE-2]]:1: error: instruction requires wavesize=32

v_dual_fma_f64 v[254:255], ttmp[14:15], v[4:5], v[10:11] :: v_dual_subrev_f32 v7, vcc_lo, v3
// GFX1250: v_dual_fma_f64 v[254:255], ttmp[14:15], v[4:5], v[10:11] :: v_dual_subrev_f32 v7, vcc_lo, v3 ; encoding: [0x7a,0x60,0x80,0xcf,0x6a,0x00,0x04,0x0a,0xfe,0x03,0x00,0x07]
// W64-ERR: :[[@LINE-2]]:1: error: instruction requires wavesize=32

v_dual_fma_f64 v[254:255], exec, v[4:5], v[10:11] :: v_dual_subrev_f32 v7, v15, v3
// GFX1250: v_dual_fma_f64 v[254:255], exec, v[4:5], v[10:11] :: v_dual_subrev_f32 v7, v15, v3 ; encoding: [0x7e,0x60,0x80,0xcf,0x0f,0x01,0x04,0x0a,0xfe,0x03,0x00,0x07]
// W64-ERR: :[[@LINE-2]]:1: error: instruction requires wavesize=32

v_dual_fma_f64 v[254:255], vcc, v[4:5], v[10:11] :: v_dual_subrev_f32 v7, exec_hi, v3
// GFX1250: v_dual_fma_f64 v[254:255], vcc, v[4:5], v[10:11] :: v_dual_subrev_f32 v7, exec_hi, v3 ; encoding: [0x6a,0x60,0x80,0xcf,0x7f,0x00,0x04,0x0a,0xfe,0x03,0x00,0x07]
// W64-ERR: :[[@LINE-2]]:1: error: instruction requires wavesize=32

v_dual_fma_f64 v[254:255], src_scc, v[4:5], v[10:11] :: v_dual_subrev_f32 v7, -1, v3
// GFX1250: v_dual_fma_f64 v[254:255], src_scc, v[4:5], v[10:11] :: v_dual_subrev_f32 v7, -1, v3 ; encoding: [0xfd,0x60,0x80,0xcf,0xc1,0x00,0x04,0x0a,0xfe,0x03,0x00,0x07]
// W64-ERR: :[[@LINE-2]]:1: error: instruction requires wavesize=32

v_dual_fma_f64 v[254:255], 0.5, v[8:9], v[10:11] :: v_dual_subrev_f32 v7, 0.5, v2
// GFX1250: v_dual_fma_f64 v[254:255], 0.5, v[8:9], v[10:11] :: v_dual_subrev_f32 v7, 0.5, v2 ; encoding: [0xf0,0x60,0x80,0xcf,0xf0,0x00,0x08,0x0a,0xfe,0x02,0x00,0x07]
// W64-ERR: :[[@LINE-2]]:1: error: instruction requires wavesize=32

v_dual_fma_f64 v[254:255], -1, v[6:7], v[10:11] :: v_dual_subrev_f32 v7, src_scc, v5
// GFX1250: v_dual_fma_f64 v[254:255], -1, v[6:7], v[10:11] :: v_dual_subrev_f32 v7, src_scc, v5 ; encoding: [0xc1,0x60,0x80,0xcf,0xfd,0x00,0x06,0x0a,0xfe,0x05,0x00,0x07]
// W64-ERR: :[[@LINE-2]]:1: error: instruction requires wavesize=32

v_dual_fma_f64 v[2:3], v[6:7], v[4:5], v[10:11] :: v_dual_fma_f32 v9, v1, v14, v4
// GFX1250: v_dual_fma_f64 v[2:3], v[6:7], v[4:5], v[10:11] :: v_dual_fma_f32 v9, v1, v14, v4 ; encoding: [0x06,0x31,0x81,0xcf,0x01,0x01,0x04,0x0a,0x02,0x0e,0x04,0x09]
// W64-ERR: :[[@LINE-2]]:1: error: instruction requires wavesize=32

v_dual_fma_f64 v[2:3], v[6:7], v[4:5], v[10:11] :: v_dual_sub_nc_u32 v9, v1, v14
// GFX1250: v_dual_fma_f64 v[2:3], v[6:7], v[4:5], v[10:11] :: v_dual_sub_nc_u32 v9, v1, v14 ; encoding: [0x06,0x41,0x81,0xcf,0x01,0x01,0x04,0x0a,0x02,0x0e,0x00,0x09]
// W64-ERR: :[[@LINE-2]]:1: error: instruction requires wavesize=32

v_dual_fma_f64 v[2:3], v[6:7], v[4:5], v[10:11] :: v_dual_lshrrev_b32 v9, v1, v14
// GFX1250: v_dual_fma_f64 v[2:3], v[6:7], v[4:5], v[10:11] :: v_dual_lshrrev_b32 v9, v1, v14 ; encoding: [0x06,0x51,0x81,0xcf,0x01,0x01,0x04,0x0a,0x02,0x0e,0x00,0x09]
// W64-ERR: :[[@LINE-2]]:1: error: instruction requires wavesize=32

v_dual_fma_f64 v[2:3], v[6:7], v[4:5], v[10:11] :: v_dual_ashrrev_i32 v9, v1, v14
// GFX1250: v_dual_fma_f64 v[2:3], v[6:7], v[4:5], v[10:11] :: v_dual_ashrrev_i32 v9, v1, v14 ; encoding: [0x06,0x61,0x81,0xcf,0x01,0x01,0x04,0x0a,0x02,0x0e,0x00,0x09]
// W64-ERR: :[[@LINE-2]]:1: error: instruction requires wavesize=32

v_dual_fma_f64 v[2:3], v[6:7], v[4:5], v[10:11] :: v_dual_bitop2_b32 v7, v1, v3 bitop3:0x91
// GFX1250: v_dual_fma_f64 v[2:3], v[6:7], v[4:5], v[10:11] :: v_dual_bitop2_b32 v7, v1, v3 bitop3:0x91 ; encoding: [0x06,0x21,0x81,0xcf,0x01,0x01,0x04,0x0a,0x02,0x03,0x91,0x07]
// W64-ERR: :[[@LINE-2]]:1: error: instruction requires wavesize=32

v_dual_add_f64 v[252:253], v[6:7], v[4:5] :: v_dual_add_f32 v8, v1, v3
// GFX1250: v_dual_add_f64 v[252:253], v[6:7], v[4:5] :: v_dual_add_f32 v8, v1, v3 ; encoding: [0x06,0x41,0x84,0xcf,0x01,0x01,0x04,0x00,0xfc,0x03,0x00,0x08]
// W64-ERR: :[[@LINE-2]]:1: error: instruction requires wavesize=32

v_dual_add_f64 v[254:255], v[2:3], v[4:5] :: v_dual_add_f32 v7, v253, v3
// GFX1250: v_dual_add_f64 v[254:255], v[2:3], v[4:5] :: v_dual_add_f32 v7, v253, v3 ; encoding: [0x02,0x41,0x84,0xcf,0xfd,0x01,0x04,0x00,0xfe,0x03,0x00,0x07]
	;; [unrolled: 4-line block ×6, first 2 shown]
// W64-ERR: :[[@LINE-2]]:1: error: instruction requires wavesize=32

v_dual_add_f64 v[254:255], ttmp[14:15], v[4:5] :: v_dual_add_f32 v7, vcc_lo, v3
// GFX1250: v_dual_add_f64 v[254:255], ttmp[14:15], v[4:5] :: v_dual_add_f32 v7, vcc_lo, v3 ; encoding: [0x7a,0x40,0x84,0xcf,0x6a,0x00,0x04,0x00,0xfe,0x03,0x00,0x07]
// W64-ERR: :[[@LINE-2]]:1: error: instruction requires wavesize=32

v_dual_add_f64 v[254:255], exec, v[4:5] :: v_dual_add_f32 v7, v15, v3
// GFX1250: v_dual_add_f64 v[254:255], exec, v[4:5] :: v_dual_add_f32 v7, v15, v3 ; encoding: [0x7e,0x40,0x84,0xcf,0x0f,0x01,0x04,0x00,0xfe,0x03,0x00,0x07]
// W64-ERR: :[[@LINE-2]]:1: error: instruction requires wavesize=32

v_dual_add_f64 v[254:255], vcc, v[4:5] :: v_dual_add_f32 v7, exec_hi, v3
// GFX1250: v_dual_add_f64 v[254:255], vcc, v[4:5] :: v_dual_add_f32 v7, exec_hi, v3 ; encoding: [0x6a,0x40,0x84,0xcf,0x7f,0x00,0x04,0x00,0xfe,0x03,0x00,0x07]
// W64-ERR: :[[@LINE-2]]:1: error: instruction requires wavesize=32

v_dual_add_f64 v[254:255], src_scc, v[4:5] :: v_dual_add_f32 v7, -1, v3
// GFX1250: v_dual_add_f64 v[254:255], src_scc, v[4:5] :: v_dual_add_f32 v7, -1, v3 ; encoding: [0xfd,0x40,0x84,0xcf,0xc1,0x00,0x04,0x00,0xfe,0x03,0x00,0x07]
// W64-ERR: :[[@LINE-2]]:1: error: instruction requires wavesize=32

v_dual_add_f64 v[254:255], 0.5, v[8:9] :: v_dual_add_f32 v7, 0.5, v2
// GFX1250: v_dual_add_f64 v[254:255], 0.5, v[8:9] :: v_dual_add_f32 v7, 0.5, v2 ; encoding: [0xf0,0x40,0x84,0xcf,0xf0,0x00,0x08,0x00,0xfe,0x02,0x00,0x07]
// W64-ERR: :[[@LINE-2]]:1: error: instruction requires wavesize=32

v_dual_add_f64 v[254:255], -1, v[6:7] :: v_dual_add_f32 v7, src_scc, v5
// GFX1250: v_dual_add_f64 v[254:255], -1, v[6:7] :: v_dual_add_f32 v7, src_scc, v5 ; encoding: [0xc1,0x40,0x84,0xcf,0xfd,0x00,0x06,0x00,0xfe,0x05,0x00,0x07]
// W64-ERR: :[[@LINE-2]]:1: error: instruction requires wavesize=32

v_dual_add_f64 v[254:255], v[4:5], v[4:5] :: v_dual_add_nc_u32 v7, v2, v3
// GFX1250: v_dual_add_f64 v[254:255], v[4:5], v[4:5] :: v_dual_add_nc_u32 v7, v2, v3 ; encoding: [0x04,0x01,0x85,0xcf,0x02,0x01,0x04,0x00,0xfe,0x03,0x00,0x07]
// W64-ERR: :[[@LINE-2]]:1: error: instruction requires wavesize=32

v_dual_add_f64 v[254:255], v[2:3], v[4:5] :: v_dual_add_nc_u32 v7, v253, v3
// GFX1250: v_dual_add_f64 v[254:255], v[2:3], v[4:5] :: v_dual_add_nc_u32 v7, v253, v3 ; encoding: [0x02,0x01,0x85,0xcf,0xfd,0x01,0x04,0x00,0xfe,0x03,0x00,0x07]
	;; [unrolled: 4-line block ×6, first 2 shown]
// W64-ERR: :[[@LINE-2]]:1: error: instruction requires wavesize=32

v_dual_add_f64 v[254:255], ttmp[14:15], v[4:5] :: v_dual_add_nc_u32 v7, vcc_lo, v3
// GFX1250: v_dual_add_f64 v[254:255], ttmp[14:15], v[4:5] :: v_dual_add_nc_u32 v7, vcc_lo, v3 ; encoding: [0x7a,0x00,0x85,0xcf,0x6a,0x00,0x04,0x00,0xfe,0x03,0x00,0x07]
// W64-ERR: :[[@LINE-2]]:1: error: instruction requires wavesize=32

v_dual_add_f64 v[254:255], exec, v[4:5] :: v_dual_add_nc_u32 v7, v15, v3
// GFX1250: v_dual_add_f64 v[254:255], exec, v[4:5] :: v_dual_add_nc_u32 v7, v15, v3 ; encoding: [0x7e,0x00,0x85,0xcf,0x0f,0x01,0x04,0x00,0xfe,0x03,0x00,0x07]
// W64-ERR: :[[@LINE-2]]:1: error: instruction requires wavesize=32

v_dual_add_f64 v[254:255], vcc, v[4:5] :: v_dual_add_nc_u32 v7, exec_hi, v3
// GFX1250: v_dual_add_f64 v[254:255], vcc, v[4:5] :: v_dual_add_nc_u32 v7, exec_hi, v3 ; encoding: [0x6a,0x00,0x85,0xcf,0x7f,0x00,0x04,0x00,0xfe,0x03,0x00,0x07]
// W64-ERR: :[[@LINE-2]]:1: error: instruction requires wavesize=32

v_dual_add_f64 v[254:255], src_scc, v[4:5] :: v_dual_add_nc_u32 v7, -1, v3
// GFX1250: v_dual_add_f64 v[254:255], src_scc, v[4:5] :: v_dual_add_nc_u32 v7, -1, v3 ; encoding: [0xfd,0x00,0x85,0xcf,0xc1,0x00,0x04,0x00,0xfe,0x03,0x00,0x07]
// W64-ERR: :[[@LINE-2]]:1: error: instruction requires wavesize=32

v_dual_add_f64 v[254:255], 0.5, v[8:9] :: v_dual_add_nc_u32 v7, 0.5, v2
// GFX1250: v_dual_add_f64 v[254:255], 0.5, v[8:9] :: v_dual_add_nc_u32 v7, 0.5, v2 ; encoding: [0xf0,0x00,0x85,0xcf,0xf0,0x00,0x08,0x00,0xfe,0x02,0x00,0x07]
// W64-ERR: :[[@LINE-2]]:1: error: instruction requires wavesize=32

v_dual_add_f64 v[254:255], -1, v[6:7] :: v_dual_add_nc_u32 v7, src_scc, v5
// GFX1250: v_dual_add_f64 v[254:255], -1, v[6:7] :: v_dual_add_nc_u32 v7, src_scc, v5 ; encoding: [0xc1,0x00,0x85,0xcf,0xfd,0x00,0x06,0x00,0xfe,0x05,0x00,0x07]
// W64-ERR: :[[@LINE-2]]:1: error: instruction requires wavesize=32

v_dual_add_f64 v[254:255], v[4:5], v[4:5] :: v_dual_cndmask_b32 v7, v2, v3, vcc_lo
// GFX1250: v_dual_add_f64 v[254:255], v[4:5], v[4:5] :: v_dual_cndmask_b32 v7, v2, v3, vcc_lo ; encoding: [0x04,0x91,0x84,0xcf,0x02,0x01,0x04,0x00,0xfe,0x03,0x6a,0x07]
// W64-ERR: :[[@LINE-2]]:1: error: instruction requires wavesize=32

v_dual_add_f64 v[254:255], v[2:3], v[4:5] :: v_dual_cndmask_b32 v7, v253, v3, vcc_lo
// GFX1250: v_dual_add_f64 v[254:255], v[2:3], v[4:5] :: v_dual_cndmask_b32 v7, v253, v3, vcc_lo ; encoding: [0x02,0x91,0x84,0xcf,0xfd,0x01,0x04,0x00,0xfe,0x03,0x6a,0x07]
	;; [unrolled: 4-line block ×6, first 2 shown]
// W64-ERR: :[[@LINE-2]]:1: error: instruction requires wavesize=32

v_dual_add_f64 v[254:255], ttmp[14:15], v[4:5] :: v_dual_cndmask_b32 v7, v15, v3, vcc_lo
// GFX1250: v_dual_add_f64 v[254:255], ttmp[14:15], v[4:5] :: v_dual_cndmask_b32 v7, v15, v3, vcc_lo ; encoding: [0x7a,0x90,0x84,0xcf,0x0f,0x01,0x04,0x00,0xfe,0x03,0x6a,0x07]
// W64-ERR: :[[@LINE-2]]:1: error: instruction requires wavesize=32

v_dual_add_f64 v[254:255], exec, v[4:5] :: v_dual_cndmask_b32 v7, v10, v3, vcc_lo
// GFX1250: v_dual_add_f64 v[254:255], exec, v[4:5] :: v_dual_cndmask_b32 v7, v10, v3, vcc_lo ; encoding: [0x7e,0x90,0x84,0xcf,0x0a,0x01,0x04,0x00,0xfe,0x03,0x6a,0x07]
// W64-ERR: :[[@LINE-2]]:1: error: instruction requires wavesize=32

v_dual_add_f64 v[254:255], vcc, v[4:5] :: v_dual_cndmask_b32 v7, vcc_lo, v3, vcc_lo
// GFX1250: v_dual_add_f64 v[254:255], vcc, v[4:5] :: v_dual_cndmask_b32 v7, vcc_lo, v3, vcc_lo ; encoding: [0x6a,0x90,0x84,0xcf,0x6a,0x00,0x04,0x00,0xfe,0x03,0x6a,0x07]
// W64-ERR: :[[@LINE-2]]:1: error: instruction requires wavesize=32

v_dual_add_f64 v[254:255], src_scc, v[4:5] :: v_dual_cndmask_b32 v7, -1, v3, vcc_lo
// GFX1250: v_dual_add_f64 v[254:255], src_scc, v[4:5] :: v_dual_cndmask_b32 v7, -1, v3, vcc_lo ; encoding: [0xfd,0x90,0x84,0xcf,0xc1,0x00,0x04,0x00,0xfe,0x03,0x6a,0x07]
// W64-ERR: :[[@LINE-2]]:1: error: instruction requires wavesize=32

v_dual_add_f64 v[254:255], 0.5, v[8:9] :: v_dual_cndmask_b32 v7, 0.5, v2, vcc_lo
// GFX1250: v_dual_add_f64 v[254:255], 0.5, v[8:9] :: v_dual_cndmask_b32 v7, 0.5, v2, vcc_lo ; encoding: [0xf0,0x90,0x84,0xcf,0xf0,0x00,0x08,0x00,0xfe,0x02,0x6a,0x07]
// W64-ERR: :[[@LINE-2]]:1: error: instruction requires wavesize=32

v_dual_add_f64 v[254:255], -1, v[6:7] :: v_dual_cndmask_b32 v7, src_scc, v5, vcc_lo
// GFX1250: v_dual_add_f64 v[254:255], -1, v[6:7] :: v_dual_cndmask_b32 v7, src_scc, v5, vcc_lo ; encoding: [0xc1,0x90,0x84,0xcf,0xfd,0x00,0x06,0x00,0xfe,0x05,0x6a,0x07]
// W64-ERR: :[[@LINE-2]]:1: error: instruction requires wavesize=32

v_dual_add_f64 v[254:255], v[4:5], v[4:5] :: v_dual_fmac_f32 v9, v2, v3
// GFX1250: v_dual_add_f64 v[254:255], v[4:5], v[4:5] :: v_dual_fmac_f32 v9, v2, v3 ; encoding: [0x04,0x01,0x84,0xcf,0x02,0x01,0x04,0x00,0xfe,0x03,0x00,0x09]
// W64-ERR: :[[@LINE-2]]:1: error: instruction requires wavesize=32

v_dual_add_f64 v[254:255], v[2:3], v[4:5] :: v_dual_fmac_f32 v9, v253, v3
// GFX1250: v_dual_add_f64 v[254:255], v[2:3], v[4:5] :: v_dual_fmac_f32 v9, v253, v3 ; encoding: [0x02,0x01,0x84,0xcf,0xfd,0x01,0x04,0x00,0xfe,0x03,0x00,0x09]
	;; [unrolled: 4-line block ×6, first 2 shown]
// W64-ERR: :[[@LINE-2]]:1: error: instruction requires wavesize=32

v_dual_add_f64 v[254:255], ttmp[14:15], v[4:5] :: v_dual_fmac_f32 v9, vcc_lo, v3
// GFX1250: v_dual_add_f64 v[254:255], ttmp[14:15], v[4:5] :: v_dual_fmac_f32 v9, vcc_lo, v3 ; encoding: [0x7a,0x00,0x84,0xcf,0x6a,0x00,0x04,0x00,0xfe,0x03,0x00,0x09]
// W64-ERR: :[[@LINE-2]]:1: error: instruction requires wavesize=32

v_dual_add_f64 v[254:255], exec, v[4:5] :: v_dual_fmac_f32 v9, v15, v3
// GFX1250: v_dual_add_f64 v[254:255], exec, v[4:5] :: v_dual_fmac_f32 v9, v15, v3 ; encoding: [0x7e,0x00,0x84,0xcf,0x0f,0x01,0x04,0x00,0xfe,0x03,0x00,0x09]
// W64-ERR: :[[@LINE-2]]:1: error: instruction requires wavesize=32

v_dual_add_f64 v[254:255], vcc, v[4:5] :: v_dual_fmac_f32 v9, exec_hi, v3
// GFX1250: v_dual_add_f64 v[254:255], vcc, v[4:5] :: v_dual_fmac_f32 v9, exec_hi, v3 ; encoding: [0x6a,0x00,0x84,0xcf,0x7f,0x00,0x04,0x00,0xfe,0x03,0x00,0x09]
// W64-ERR: :[[@LINE-2]]:1: error: instruction requires wavesize=32

v_dual_add_f64 v[254:255], src_scc, v[4:5] :: v_dual_fmac_f32 v9, -1, v3
// GFX1250: v_dual_add_f64 v[254:255], src_scc, v[4:5] :: v_dual_fmac_f32 v9, -1, v3 ; encoding: [0xfd,0x00,0x84,0xcf,0xc1,0x00,0x04,0x00,0xfe,0x03,0x00,0x09]
// W64-ERR: :[[@LINE-2]]:1: error: instruction requires wavesize=32

v_dual_add_f64 v[254:255], 0.5, v[8:9] :: v_dual_fmac_f32 v9, 0.5, v2
// GFX1250: v_dual_add_f64 v[254:255], 0.5, v[8:9] :: v_dual_fmac_f32 v9, 0.5, v2 ; encoding: [0xf0,0x00,0x84,0xcf,0xf0,0x00,0x08,0x00,0xfe,0x02,0x00,0x09]
// W64-ERR: :[[@LINE-2]]:1: error: instruction requires wavesize=32

v_dual_add_f64 v[254:255], -1, v[6:7] :: v_dual_fmac_f32 v9, src_scc, v5
// GFX1250: v_dual_add_f64 v[254:255], -1, v[6:7] :: v_dual_fmac_f32 v9, src_scc, v5 ; encoding: [0xc1,0x00,0x84,0xcf,0xfd,0x00,0x06,0x00,0xfe,0x05,0x00,0x09]
// W64-ERR: :[[@LINE-2]]:1: error: instruction requires wavesize=32

v_dual_add_f64 v[254:255], v[4:5], v[4:5] :: v_dual_lshlrev_b32 v7, v2, v3
// GFX1250: v_dual_add_f64 v[254:255], v[4:5], v[4:5] :: v_dual_lshlrev_b32 v7, v2, v3 ; encoding: [0x04,0x11,0x85,0xcf,0x02,0x01,0x04,0x00,0xfe,0x03,0x00,0x07]
// W64-ERR: :[[@LINE-2]]:1: error: instruction requires wavesize=32

v_dual_add_f64 v[254:255], v[2:3], v[4:5] :: v_dual_lshlrev_b32 v7, v253, v3
// GFX1250: v_dual_add_f64 v[254:255], v[2:3], v[4:5] :: v_dual_lshlrev_b32 v7, v253, v3 ; encoding: [0x02,0x11,0x85,0xcf,0xfd,0x01,0x04,0x00,0xfe,0x03,0x00,0x07]
	;; [unrolled: 4-line block ×6, first 2 shown]
// W64-ERR: :[[@LINE-2]]:1: error: instruction requires wavesize=32

v_dual_add_f64 v[254:255], ttmp[14:15], v[4:5] :: v_dual_lshlrev_b32 v7, vcc_lo, v3
// GFX1250: v_dual_add_f64 v[254:255], ttmp[14:15], v[4:5] :: v_dual_lshlrev_b32 v7, vcc_lo, v3 ; encoding: [0x7a,0x10,0x85,0xcf,0x6a,0x00,0x04,0x00,0xfe,0x03,0x00,0x07]
// W64-ERR: :[[@LINE-2]]:1: error: instruction requires wavesize=32

v_dual_add_f64 v[254:255], exec, v[4:5] :: v_dual_lshlrev_b32 v7, v15, v3
// GFX1250: v_dual_add_f64 v[254:255], exec, v[4:5] :: v_dual_lshlrev_b32 v7, v15, v3 ; encoding: [0x7e,0x10,0x85,0xcf,0x0f,0x01,0x04,0x00,0xfe,0x03,0x00,0x07]
// W64-ERR: :[[@LINE-2]]:1: error: instruction requires wavesize=32

v_dual_add_f64 v[254:255], vcc, v[4:5] :: v_dual_lshlrev_b32 v7, exec_hi, v3
// GFX1250: v_dual_add_f64 v[254:255], vcc, v[4:5] :: v_dual_lshlrev_b32 v7, exec_hi, v3 ; encoding: [0x6a,0x10,0x85,0xcf,0x7f,0x00,0x04,0x00,0xfe,0x03,0x00,0x07]
// W64-ERR: :[[@LINE-2]]:1: error: instruction requires wavesize=32

v_dual_add_f64 v[254:255], src_scc, v[4:5] :: v_dual_lshlrev_b32 v7, -1, v3
// GFX1250: v_dual_add_f64 v[254:255], src_scc, v[4:5] :: v_dual_lshlrev_b32 v7, -1, v3 ; encoding: [0xfd,0x10,0x85,0xcf,0xc1,0x00,0x04,0x00,0xfe,0x03,0x00,0x07]
// W64-ERR: :[[@LINE-2]]:1: error: instruction requires wavesize=32

v_dual_add_f64 v[254:255], 0.5, v[8:9] :: v_dual_lshlrev_b32 v7, 0.5, v2
// GFX1250: v_dual_add_f64 v[254:255], 0.5, v[8:9] :: v_dual_lshlrev_b32 v7, 0.5, v2 ; encoding: [0xf0,0x10,0x85,0xcf,0xf0,0x00,0x08,0x00,0xfe,0x02,0x00,0x07]
// W64-ERR: :[[@LINE-2]]:1: error: instruction requires wavesize=32

v_dual_add_f64 v[254:255], -1, v[6:7] :: v_dual_lshlrev_b32 v7, src_scc, v5
// GFX1250: v_dual_add_f64 v[254:255], -1, v[6:7] :: v_dual_lshlrev_b32 v7, src_scc, v5 ; encoding: [0xc1,0x10,0x85,0xcf,0xfd,0x00,0x06,0x00,0xfe,0x05,0x00,0x07]
// W64-ERR: :[[@LINE-2]]:1: error: instruction requires wavesize=32

v_dual_add_f64 v[254:255], v[4:5], v[4:5] :: v_dual_max_num_f32 v7, v2, v3
// GFX1250: v_dual_add_f64 v[254:255], v[4:5], v[4:5] :: v_dual_max_num_f32 v7, v2, v3 ; encoding: [0x04,0xa1,0x84,0xcf,0x02,0x01,0x04,0x00,0xfe,0x03,0x00,0x07]
// W64-ERR: :[[@LINE-2]]:1: error: instruction requires wavesize=32

v_dual_add_f64 v[254:255], v[2:3], v[4:5] :: v_dual_max_num_f32 v7, v253, v3
// GFX1250: v_dual_add_f64 v[254:255], v[2:3], v[4:5] :: v_dual_max_num_f32 v7, v253, v3 ; encoding: [0x02,0xa1,0x84,0xcf,0xfd,0x01,0x04,0x00,0xfe,0x03,0x00,0x07]
	;; [unrolled: 4-line block ×6, first 2 shown]
// W64-ERR: :[[@LINE-2]]:1: error: instruction requires wavesize=32

v_dual_add_f64 v[254:255], ttmp[14:15], v[4:5] :: v_dual_max_num_f32 v7, vcc_lo, v3
// GFX1250: v_dual_add_f64 v[254:255], ttmp[14:15], v[4:5] :: v_dual_max_num_f32 v7, vcc_lo, v3 ; encoding: [0x7a,0xa0,0x84,0xcf,0x6a,0x00,0x04,0x00,0xfe,0x03,0x00,0x07]
// W64-ERR: :[[@LINE-2]]:1: error: instruction requires wavesize=32

v_dual_add_f64 v[254:255], exec, v[4:5] :: v_dual_max_num_f32 v7, v15, v3
// GFX1250: v_dual_add_f64 v[254:255], exec, v[4:5] :: v_dual_max_num_f32 v7, v15, v3 ; encoding: [0x7e,0xa0,0x84,0xcf,0x0f,0x01,0x04,0x00,0xfe,0x03,0x00,0x07]
// W64-ERR: :[[@LINE-2]]:1: error: instruction requires wavesize=32

v_dual_add_f64 v[254:255], vcc, v[4:5] :: v_dual_max_num_f32 v7, exec_hi, v3
// GFX1250: v_dual_add_f64 v[254:255], vcc, v[4:5] :: v_dual_max_num_f32 v7, exec_hi, v3 ; encoding: [0x6a,0xa0,0x84,0xcf,0x7f,0x00,0x04,0x00,0xfe,0x03,0x00,0x07]
// W64-ERR: :[[@LINE-2]]:1: error: instruction requires wavesize=32

v_dual_add_f64 v[254:255], src_scc, v[4:5] :: v_dual_max_num_f32 v7, -1, v3
// GFX1250: v_dual_add_f64 v[254:255], src_scc, v[4:5] :: v_dual_max_num_f32 v7, -1, v3 ; encoding: [0xfd,0xa0,0x84,0xcf,0xc1,0x00,0x04,0x00,0xfe,0x03,0x00,0x07]
// W64-ERR: :[[@LINE-2]]:1: error: instruction requires wavesize=32

v_dual_add_f64 v[254:255], 0.5, v[8:9] :: v_dual_max_num_f32 v7, 0.5, v2
// GFX1250: v_dual_add_f64 v[254:255], 0.5, v[8:9] :: v_dual_max_num_f32 v7, 0.5, v2 ; encoding: [0xf0,0xa0,0x84,0xcf,0xf0,0x00,0x08,0x00,0xfe,0x02,0x00,0x07]
// W64-ERR: :[[@LINE-2]]:1: error: instruction requires wavesize=32

v_dual_add_f64 v[254:255], -1, v[6:7] :: v_dual_max_num_f32 v7, src_scc, v5
// GFX1250: v_dual_add_f64 v[254:255], -1, v[6:7] :: v_dual_max_num_f32 v7, src_scc, v5 ; encoding: [0xc1,0xa0,0x84,0xcf,0xfd,0x00,0x06,0x00,0xfe,0x05,0x00,0x07]
// W64-ERR: :[[@LINE-2]]:1: error: instruction requires wavesize=32

v_dual_add_f64 v[254:255], v[4:5], v[4:5] :: v_dual_min_num_f32 v7, v2, v3
// GFX1250: v_dual_add_f64 v[254:255], v[4:5], v[4:5] :: v_dual_min_num_f32 v7, v2, v3 ; encoding: [0x04,0xb1,0x84,0xcf,0x02,0x01,0x04,0x00,0xfe,0x03,0x00,0x07]
// W64-ERR: :[[@LINE-2]]:1: error: instruction requires wavesize=32

v_dual_add_f64 v[254:255], v[2:3], v[4:5] :: v_dual_min_num_f32 v7, v253, v3
// GFX1250: v_dual_add_f64 v[254:255], v[2:3], v[4:5] :: v_dual_min_num_f32 v7, v253, v3 ; encoding: [0x02,0xb1,0x84,0xcf,0xfd,0x01,0x04,0x00,0xfe,0x03,0x00,0x07]
	;; [unrolled: 4-line block ×6, first 2 shown]
// W64-ERR: :[[@LINE-2]]:1: error: instruction requires wavesize=32

v_dual_add_f64 v[254:255], ttmp[14:15], v[4:5] :: v_dual_min_num_f32 v7, vcc_lo, v3
// GFX1250: v_dual_add_f64 v[254:255], ttmp[14:15], v[4:5] :: v_dual_min_num_f32 v7, vcc_lo, v3 ; encoding: [0x7a,0xb0,0x84,0xcf,0x6a,0x00,0x04,0x00,0xfe,0x03,0x00,0x07]
// W64-ERR: :[[@LINE-2]]:1: error: instruction requires wavesize=32

v_dual_add_f64 v[254:255], exec, v[4:5] :: v_dual_min_num_f32 v7, v15, v3
// GFX1250: v_dual_add_f64 v[254:255], exec, v[4:5] :: v_dual_min_num_f32 v7, v15, v3 ; encoding: [0x7e,0xb0,0x84,0xcf,0x0f,0x01,0x04,0x00,0xfe,0x03,0x00,0x07]
// W64-ERR: :[[@LINE-2]]:1: error: instruction requires wavesize=32

v_dual_add_f64 v[254:255], vcc, v[4:5] :: v_dual_min_num_f32 v7, exec_hi, v3
// GFX1250: v_dual_add_f64 v[254:255], vcc, v[4:5] :: v_dual_min_num_f32 v7, exec_hi, v3 ; encoding: [0x6a,0xb0,0x84,0xcf,0x7f,0x00,0x04,0x00,0xfe,0x03,0x00,0x07]
// W64-ERR: :[[@LINE-2]]:1: error: instruction requires wavesize=32

v_dual_add_f64 v[254:255], src_scc, v[4:5] :: v_dual_min_num_f32 v7, -1, v3
// GFX1250: v_dual_add_f64 v[254:255], src_scc, v[4:5] :: v_dual_min_num_f32 v7, -1, v3 ; encoding: [0xfd,0xb0,0x84,0xcf,0xc1,0x00,0x04,0x00,0xfe,0x03,0x00,0x07]
// W64-ERR: :[[@LINE-2]]:1: error: instruction requires wavesize=32

v_dual_add_f64 v[254:255], 0.5, v[8:9] :: v_dual_min_num_f32 v7, 0.5, v2
// GFX1250: v_dual_add_f64 v[254:255], 0.5, v[8:9] :: v_dual_min_num_f32 v7, 0.5, v2 ; encoding: [0xf0,0xb0,0x84,0xcf,0xf0,0x00,0x08,0x00,0xfe,0x02,0x00,0x07]
// W64-ERR: :[[@LINE-2]]:1: error: instruction requires wavesize=32

v_dual_add_f64 v[254:255], -1, v[6:7] :: v_dual_min_num_f32 v7, src_scc, v5
// GFX1250: v_dual_add_f64 v[254:255], -1, v[6:7] :: v_dual_min_num_f32 v7, src_scc, v5 ; encoding: [0xc1,0xb0,0x84,0xcf,0xfd,0x00,0x06,0x00,0xfe,0x05,0x00,0x07]
// W64-ERR: :[[@LINE-2]]:1: error: instruction requires wavesize=32

v_dual_add_f64 v[254:255], v[4:5], v[254:255] :: v_dual_mov_b32 v7, v3
// GFX1250: v_dual_add_f64 v[254:255], v[4:5], v[254:255] :: v_dual_mov_b32 v7, v3 ; encoding: [0x04,0x81,0x84,0xcf,0x03,0x01,0xfe,0x00,0xfe,0x00,0x00,0x07]
// W64-ERR: :[[@LINE-2]]:1: error: instruction requires wavesize=32

v_dual_add_f64 v[254:255], v[2:3], v[254:255] :: v_dual_mov_b32 v7, v253
// GFX1250: v_dual_add_f64 v[254:255], v[2:3], v[254:255] :: v_dual_mov_b32 v7, v253 ; encoding: [0x02,0x81,0x84,0xcf,0xfd,0x01,0xfe,0x00,0xfe,0x00,0x00,0x07]
	;; [unrolled: 4-line block ×7, first 2 shown]
// W64-ERR: :[[@LINE-2]]:1: error: instruction requires wavesize=32

v_dual_add_f64 v[254:255], ttmp[14:15], v[254:255] :: v_dual_mov_b32 v7, vcc_lo
// GFX1250: v_dual_add_f64 v[254:255], ttmp[14:15], v[254:255] :: v_dual_mov_b32 v7, vcc_lo ; encoding: [0x7a,0x80,0x84,0xcf,0x6a,0x00,0xfe,0x00,0xfe,0x00,0x00,0x07]
// W64-ERR: :[[@LINE-2]]:1: error: instruction requires wavesize=32

v_dual_add_f64 v[254:255], exec, v[254:255] :: v_dual_mov_b32 v7, ttmp15
// GFX1250: v_dual_add_f64 v[254:255], exec, v[254:255] :: v_dual_mov_b32 v7, ttmp15 ; encoding: [0x7e,0x80,0x84,0xcf,0x7b,0x00,0xfe,0x00,0xfe,0x00,0x00,0x07]
// W64-ERR: :[[@LINE-2]]:1: error: instruction requires wavesize=32

v_dual_add_f64 v[254:255], vcc, v[254:255] :: v_dual_mov_b32 v7, exec_hi
// GFX1250: v_dual_add_f64 v[254:255], vcc, v[254:255] :: v_dual_mov_b32 v7, exec_hi ; encoding: [0x6a,0x80,0x84,0xcf,0x7f,0x00,0xfe,0x00,0xfe,0x00,0x00,0x07]
// W64-ERR: :[[@LINE-2]]:1: error: instruction requires wavesize=32

v_dual_add_f64 v[254:255], src_scc, v[254:255] :: v_dual_mov_b32 v7, -1
// GFX1250: v_dual_add_f64 v[254:255], src_scc, v[254:255] :: v_dual_mov_b32 v7, -1 ; encoding: [0xfd,0x80,0x84,0xcf,0xc1,0x00,0xfe,0x00,0xfe,0x00,0x00,0x07]
// W64-ERR: :[[@LINE-2]]:1: error: instruction requires wavesize=32

v_dual_add_f64 v[254:255], 0.5, v[8:9] :: v_dual_mov_b32 v7, 0.5
// GFX1250: v_dual_add_f64 v[254:255], 0.5, v[8:9] :: v_dual_mov_b32 v7, 0.5 ; encoding: [0xf0,0x80,0x84,0xcf,0xf0,0x00,0x08,0x00,0xfe,0x00,0x00,0x07]
// W64-ERR: :[[@LINE-2]]:1: error: instruction requires wavesize=32

v_dual_add_f64 v[254:255], -1, v[6:7] :: v_dual_mov_b32 v7, src_scc
// GFX1250: v_dual_add_f64 v[254:255], -1, v[6:7] :: v_dual_mov_b32 v7, src_scc ; encoding: [0xc1,0x80,0x84,0xcf,0xfd,0x00,0x06,0x00,0xfe,0x00,0x00,0x07]
// W64-ERR: :[[@LINE-2]]:1: error: instruction requires wavesize=32

v_dual_add_f64 v[254:255], v[4:5], v[4:5] :: v_dual_mul_dx9_zero_f32 v7, v2, v3
// GFX1250: v_dual_add_f64 v[254:255], v[4:5], v[4:5] :: v_dual_mul_dx9_zero_f32 v7, v2, v3 ; encoding: [0x04,0x71,0x84,0xcf,0x02,0x01,0x04,0x00,0xfe,0x03,0x00,0x07]
// W64-ERR: :[[@LINE-2]]:1: error: instruction requires wavesize=32

v_dual_add_f64 v[254:255], v[2:3], v[4:5] :: v_dual_mul_dx9_zero_f32 v7, v253, v3
// GFX1250: v_dual_add_f64 v[254:255], v[2:3], v[4:5] :: v_dual_mul_dx9_zero_f32 v7, v253, v3 ; encoding: [0x02,0x71,0x84,0xcf,0xfd,0x01,0x04,0x00,0xfe,0x03,0x00,0x07]
	;; [unrolled: 4-line block ×6, first 2 shown]
// W64-ERR: :[[@LINE-2]]:1: error: instruction requires wavesize=32

v_dual_add_f64 v[254:255], ttmp[14:15], v[4:5] :: v_dual_mul_dx9_zero_f32 v7, vcc_lo, v3
// GFX1250: v_dual_add_f64 v[254:255], ttmp[14:15], v[4:5] :: v_dual_mul_dx9_zero_f32 v7, vcc_lo, v3 ; encoding: [0x7a,0x70,0x84,0xcf,0x6a,0x00,0x04,0x00,0xfe,0x03,0x00,0x07]
// W64-ERR: :[[@LINE-2]]:1: error: instruction requires wavesize=32

v_dual_add_f64 v[254:255], exec, v[4:5] :: v_dual_mul_dx9_zero_f32 v7, v15, v3
// GFX1250: v_dual_add_f64 v[254:255], exec, v[4:5] :: v_dual_mul_dx9_zero_f32 v7, v15, v3 ; encoding: [0x7e,0x70,0x84,0xcf,0x0f,0x01,0x04,0x00,0xfe,0x03,0x00,0x07]
// W64-ERR: :[[@LINE-2]]:1: error: instruction requires wavesize=32

v_dual_add_f64 v[254:255], vcc, v[4:5] :: v_dual_mul_dx9_zero_f32 v7, exec_hi, v3
// GFX1250: v_dual_add_f64 v[254:255], vcc, v[4:5] :: v_dual_mul_dx9_zero_f32 v7, exec_hi, v3 ; encoding: [0x6a,0x70,0x84,0xcf,0x7f,0x00,0x04,0x00,0xfe,0x03,0x00,0x07]
// W64-ERR: :[[@LINE-2]]:1: error: instruction requires wavesize=32

v_dual_add_f64 v[254:255], src_scc, v[4:5] :: v_dual_mul_dx9_zero_f32 v7, -1, v3
// GFX1250: v_dual_add_f64 v[254:255], src_scc, v[4:5] :: v_dual_mul_dx9_zero_f32 v7, -1, v3 ; encoding: [0xfd,0x70,0x84,0xcf,0xc1,0x00,0x04,0x00,0xfe,0x03,0x00,0x07]
// W64-ERR: :[[@LINE-2]]:1: error: instruction requires wavesize=32

v_dual_add_f64 v[254:255], 0.5, v[8:9] :: v_dual_mul_dx9_zero_f32 v7, 0.5, v2
// GFX1250: v_dual_add_f64 v[254:255], 0.5, v[8:9] :: v_dual_mul_dx9_zero_f32 v7, 0.5, v2 ; encoding: [0xf0,0x70,0x84,0xcf,0xf0,0x00,0x08,0x00,0xfe,0x02,0x00,0x07]
// W64-ERR: :[[@LINE-2]]:1: error: instruction requires wavesize=32

v_dual_add_f64 v[254:255], -1, v[6:7] :: v_dual_mul_dx9_zero_f32 v7, src_scc, v5
// GFX1250: v_dual_add_f64 v[254:255], -1, v[6:7] :: v_dual_mul_dx9_zero_f32 v7, src_scc, v5 ; encoding: [0xc1,0x70,0x84,0xcf,0xfd,0x00,0x06,0x00,0xfe,0x05,0x00,0x07]
// W64-ERR: :[[@LINE-2]]:1: error: instruction requires wavesize=32

v_dual_add_f64 v[254:255], v[4:5], v[4:5] :: v_dual_mul_f32 v7, v2, v3
// GFX1250: v_dual_add_f64 v[254:255], v[4:5], v[4:5] :: v_dual_mul_f32 v7, v2, v3 ; encoding: [0x04,0x31,0x84,0xcf,0x02,0x01,0x04,0x00,0xfe,0x03,0x00,0x07]
// W64-ERR: :[[@LINE-2]]:1: error: instruction requires wavesize=32

v_dual_add_f64 v[254:255], v[2:3], v[4:5] :: v_dual_mul_f32 v7, v253, v3
// GFX1250: v_dual_add_f64 v[254:255], v[2:3], v[4:5] :: v_dual_mul_f32 v7, v253, v3 ; encoding: [0x02,0x31,0x84,0xcf,0xfd,0x01,0x04,0x00,0xfe,0x03,0x00,0x07]
	;; [unrolled: 4-line block ×6, first 2 shown]
// W64-ERR: :[[@LINE-2]]:1: error: instruction requires wavesize=32

v_dual_add_f64 v[254:255], ttmp[14:15], v[4:5] :: v_dual_mul_f32 v7, vcc_lo, v3
// GFX1250: v_dual_add_f64 v[254:255], ttmp[14:15], v[4:5] :: v_dual_mul_f32 v7, vcc_lo, v3 ; encoding: [0x7a,0x30,0x84,0xcf,0x6a,0x00,0x04,0x00,0xfe,0x03,0x00,0x07]
// W64-ERR: :[[@LINE-2]]:1: error: instruction requires wavesize=32

v_dual_add_f64 v[254:255], exec, v[4:5] :: v_dual_mul_f32 v7, v15, v3
// GFX1250: v_dual_add_f64 v[254:255], exec, v[4:5] :: v_dual_mul_f32 v7, v15, v3 ; encoding: [0x7e,0x30,0x84,0xcf,0x0f,0x01,0x04,0x00,0xfe,0x03,0x00,0x07]
// W64-ERR: :[[@LINE-2]]:1: error: instruction requires wavesize=32

v_dual_add_f64 v[254:255], vcc, v[4:5] :: v_dual_mul_f32 v7, exec_hi, v3
// GFX1250: v_dual_add_f64 v[254:255], vcc, v[4:5] :: v_dual_mul_f32 v7, exec_hi, v3 ; encoding: [0x6a,0x30,0x84,0xcf,0x7f,0x00,0x04,0x00,0xfe,0x03,0x00,0x07]
// W64-ERR: :[[@LINE-2]]:1: error: instruction requires wavesize=32

v_dual_add_f64 v[254:255], src_scc, v[4:5] :: v_dual_mul_f32 v7, -1, v3
// GFX1250: v_dual_add_f64 v[254:255], src_scc, v[4:5] :: v_dual_mul_f32 v7, -1, v3 ; encoding: [0xfd,0x30,0x84,0xcf,0xc1,0x00,0x04,0x00,0xfe,0x03,0x00,0x07]
// W64-ERR: :[[@LINE-2]]:1: error: instruction requires wavesize=32

v_dual_add_f64 v[254:255], 0.5, v[8:9] :: v_dual_mul_f32 v7, 0.5, v2
// GFX1250: v_dual_add_f64 v[254:255], 0.5, v[8:9] :: v_dual_mul_f32 v7, 0.5, v2 ; encoding: [0xf0,0x30,0x84,0xcf,0xf0,0x00,0x08,0x00,0xfe,0x02,0x00,0x07]
// W64-ERR: :[[@LINE-2]]:1: error: instruction requires wavesize=32

v_dual_add_f64 v[254:255], -1, v[6:7] :: v_dual_mul_f32 v7, src_scc, v5
// GFX1250: v_dual_add_f64 v[254:255], -1, v[6:7] :: v_dual_mul_f32 v7, src_scc, v5 ; encoding: [0xc1,0x30,0x84,0xcf,0xfd,0x00,0x06,0x00,0xfe,0x05,0x00,0x07]
// W64-ERR: :[[@LINE-2]]:1: error: instruction requires wavesize=32

v_dual_add_f64 v[254:255], v[4:5], v[4:5] :: v_dual_sub_f32 v7, v2, v3
// GFX1250: v_dual_add_f64 v[254:255], v[4:5], v[4:5] :: v_dual_sub_f32 v7, v2, v3 ; encoding: [0x04,0x51,0x84,0xcf,0x02,0x01,0x04,0x00,0xfe,0x03,0x00,0x07]
// W64-ERR: :[[@LINE-2]]:1: error: instruction requires wavesize=32

v_dual_add_f64 v[254:255], v[2:3], v[4:5] :: v_dual_sub_f32 v7, v253, v3
// GFX1250: v_dual_add_f64 v[254:255], v[2:3], v[4:5] :: v_dual_sub_f32 v7, v253, v3 ; encoding: [0x02,0x51,0x84,0xcf,0xfd,0x01,0x04,0x00,0xfe,0x03,0x00,0x07]
	;; [unrolled: 4-line block ×6, first 2 shown]
// W64-ERR: :[[@LINE-2]]:1: error: instruction requires wavesize=32

v_dual_add_f64 v[254:255], ttmp[14:15], v[4:5] :: v_dual_sub_f32 v7, vcc_lo, v3
// GFX1250: v_dual_add_f64 v[254:255], ttmp[14:15], v[4:5] :: v_dual_sub_f32 v7, vcc_lo, v3 ; encoding: [0x7a,0x50,0x84,0xcf,0x6a,0x00,0x04,0x00,0xfe,0x03,0x00,0x07]
// W64-ERR: :[[@LINE-2]]:1: error: instruction requires wavesize=32

v_dual_add_f64 v[254:255], exec, v[4:5] :: v_dual_sub_f32 v7, v15, v3
// GFX1250: v_dual_add_f64 v[254:255], exec, v[4:5] :: v_dual_sub_f32 v7, v15, v3 ; encoding: [0x7e,0x50,0x84,0xcf,0x0f,0x01,0x04,0x00,0xfe,0x03,0x00,0x07]
// W64-ERR: :[[@LINE-2]]:1: error: instruction requires wavesize=32

v_dual_add_f64 v[254:255], vcc, v[4:5] :: v_dual_sub_f32 v7, exec_hi, v3
// GFX1250: v_dual_add_f64 v[254:255], vcc, v[4:5] :: v_dual_sub_f32 v7, exec_hi, v3 ; encoding: [0x6a,0x50,0x84,0xcf,0x7f,0x00,0x04,0x00,0xfe,0x03,0x00,0x07]
// W64-ERR: :[[@LINE-2]]:1: error: instruction requires wavesize=32

v_dual_add_f64 v[254:255], src_scc, v[4:5] :: v_dual_sub_f32 v7, -1, v3
// GFX1250: v_dual_add_f64 v[254:255], src_scc, v[4:5] :: v_dual_sub_f32 v7, -1, v3 ; encoding: [0xfd,0x50,0x84,0xcf,0xc1,0x00,0x04,0x00,0xfe,0x03,0x00,0x07]
// W64-ERR: :[[@LINE-2]]:1: error: instruction requires wavesize=32

v_dual_add_f64 v[254:255], 0.5, v[8:9] :: v_dual_sub_f32 v7, 0.5, v2
// GFX1250: v_dual_add_f64 v[254:255], 0.5, v[8:9] :: v_dual_sub_f32 v7, 0.5, v2 ; encoding: [0xf0,0x50,0x84,0xcf,0xf0,0x00,0x08,0x00,0xfe,0x02,0x00,0x07]
// W64-ERR: :[[@LINE-2]]:1: error: instruction requires wavesize=32

v_dual_add_f64 v[254:255], -1, v[6:7] :: v_dual_sub_f32 v7, src_scc, v5
// GFX1250: v_dual_add_f64 v[254:255], -1, v[6:7] :: v_dual_sub_f32 v7, src_scc, v5 ; encoding: [0xc1,0x50,0x84,0xcf,0xfd,0x00,0x06,0x00,0xfe,0x05,0x00,0x07]
// W64-ERR: :[[@LINE-2]]:1: error: instruction requires wavesize=32

v_dual_add_f64 v[254:255], v[4:5], v[4:5] :: v_dual_subrev_f32 v7, v2, v3
// GFX1250: v_dual_add_f64 v[254:255], v[4:5], v[4:5] :: v_dual_subrev_f32 v7, v2, v3 ; encoding: [0x04,0x61,0x84,0xcf,0x02,0x01,0x04,0x00,0xfe,0x03,0x00,0x07]
// W64-ERR: :[[@LINE-2]]:1: error: instruction requires wavesize=32

v_dual_add_f64 v[254:255], v[2:3], v[4:5] :: v_dual_subrev_f32 v7, v253, v3
// GFX1250: v_dual_add_f64 v[254:255], v[2:3], v[4:5] :: v_dual_subrev_f32 v7, v253, v3 ; encoding: [0x02,0x61,0x84,0xcf,0xfd,0x01,0x04,0x00,0xfe,0x03,0x00,0x07]
	;; [unrolled: 4-line block ×6, first 2 shown]
// W64-ERR: :[[@LINE-2]]:1: error: instruction requires wavesize=32

v_dual_add_f64 v[254:255], ttmp[14:15], v[4:5] :: v_dual_subrev_f32 v7, vcc_lo, v3
// GFX1250: v_dual_add_f64 v[254:255], ttmp[14:15], v[4:5] :: v_dual_subrev_f32 v7, vcc_lo, v3 ; encoding: [0x7a,0x60,0x84,0xcf,0x6a,0x00,0x04,0x00,0xfe,0x03,0x00,0x07]
// W64-ERR: :[[@LINE-2]]:1: error: instruction requires wavesize=32

v_dual_add_f64 v[254:255], exec, v[4:5] :: v_dual_subrev_f32 v7, v15, v3
// GFX1250: v_dual_add_f64 v[254:255], exec, v[4:5] :: v_dual_subrev_f32 v7, v15, v3 ; encoding: [0x7e,0x60,0x84,0xcf,0x0f,0x01,0x04,0x00,0xfe,0x03,0x00,0x07]
// W64-ERR: :[[@LINE-2]]:1: error: instruction requires wavesize=32

v_dual_add_f64 v[254:255], vcc, v[4:5] :: v_dual_subrev_f32 v7, exec_hi, v3
// GFX1250: v_dual_add_f64 v[254:255], vcc, v[4:5] :: v_dual_subrev_f32 v7, exec_hi, v3 ; encoding: [0x6a,0x60,0x84,0xcf,0x7f,0x00,0x04,0x00,0xfe,0x03,0x00,0x07]
// W64-ERR: :[[@LINE-2]]:1: error: instruction requires wavesize=32

v_dual_add_f64 v[254:255], src_scc, v[4:5] :: v_dual_subrev_f32 v7, -1, v3
// GFX1250: v_dual_add_f64 v[254:255], src_scc, v[4:5] :: v_dual_subrev_f32 v7, -1, v3 ; encoding: [0xfd,0x60,0x84,0xcf,0xc1,0x00,0x04,0x00,0xfe,0x03,0x00,0x07]
// W64-ERR: :[[@LINE-2]]:1: error: instruction requires wavesize=32

v_dual_add_f64 v[254:255], 0.5, v[8:9] :: v_dual_subrev_f32 v7, 0.5, v2
// GFX1250: v_dual_add_f64 v[254:255], 0.5, v[8:9] :: v_dual_subrev_f32 v7, 0.5, v2 ; encoding: [0xf0,0x60,0x84,0xcf,0xf0,0x00,0x08,0x00,0xfe,0x02,0x00,0x07]
// W64-ERR: :[[@LINE-2]]:1: error: instruction requires wavesize=32

v_dual_add_f64 v[254:255], -1, v[6:7] :: v_dual_subrev_f32 v7, src_scc, v5
// GFX1250: v_dual_add_f64 v[254:255], -1, v[6:7] :: v_dual_subrev_f32 v7, src_scc, v5 ; encoding: [0xc1,0x60,0x84,0xcf,0xfd,0x00,0x06,0x00,0xfe,0x05,0x00,0x07]
// W64-ERR: :[[@LINE-2]]:1: error: instruction requires wavesize=32

v_dual_add_f64 v[2:3], v[6:7], v[4:5] :: v_dual_fma_f32 v9, v1, v14, v4
// GFX1250: v_dual_add_f64 v[2:3], v[6:7], v[4:5] :: v_dual_fma_f32 v9, v1, v14, v4 ; encoding: [0x06,0x31,0x85,0xcf,0x01,0x01,0x04,0x00,0x02,0x0e,0x04,0x09]
// W64-ERR: :[[@LINE-2]]:1: error: instruction requires wavesize=32

v_dual_add_f64 v[2:3], v[6:7], v[4:5] :: v_dual_sub_nc_u32 v9, v1, v14
// GFX1250: v_dual_add_f64 v[2:3], v[6:7], v[4:5] :: v_dual_sub_nc_u32 v9, v1, v14 ; encoding: [0x06,0x41,0x85,0xcf,0x01,0x01,0x04,0x00,0x02,0x0e,0x00,0x09]
// W64-ERR: :[[@LINE-2]]:1: error: instruction requires wavesize=32

v_dual_add_f64 v[2:3], v[6:7], v[4:5] :: v_dual_lshrrev_b32 v9, v1, v14
// GFX1250: v_dual_add_f64 v[2:3], v[6:7], v[4:5] :: v_dual_lshrrev_b32 v9, v1, v14 ; encoding: [0x06,0x51,0x85,0xcf,0x01,0x01,0x04,0x00,0x02,0x0e,0x00,0x09]
// W64-ERR: :[[@LINE-2]]:1: error: instruction requires wavesize=32

v_dual_add_f64 v[2:3], v[6:7], v[4:5] :: v_dual_ashrrev_i32 v9, v1, v14
// GFX1250: v_dual_add_f64 v[2:3], v[6:7], v[4:5] :: v_dual_ashrrev_i32 v9, v1, v14 ; encoding: [0x06,0x61,0x85,0xcf,0x01,0x01,0x04,0x00,0x02,0x0e,0x00,0x09]
// W64-ERR: :[[@LINE-2]]:1: error: instruction requires wavesize=32

v_dual_add_f64 v[2:3], v[6:7], v[4:5] :: v_dual_bitop2_b32 v7, v1, v3 bitop3:0x92
// GFX1250: v_dual_add_f64 v[2:3], v[6:7], v[4:5] :: v_dual_bitop2_b32 v7, v1, v3 bitop3:0x92 ; encoding: [0x06,0x21,0x85,0xcf,0x01,0x01,0x04,0x00,0x02,0x03,0x92,0x07]
// W64-ERR: :[[@LINE-2]]:1: error: instruction requires wavesize=32

v_dual_mul_f64 v[252:253], v[6:7], v[4:5] :: v_dual_add_f32 v8, v1, v3
// GFX1250: v_dual_mul_f64 v[252:253], v[6:7], v[4:5] :: v_dual_add_f32 v8, v1, v3 ; encoding: [0x06,0x41,0x88,0xcf,0x01,0x01,0x04,0x00,0xfc,0x03,0x00,0x08]
// W64-ERR: :[[@LINE-2]]:1: error: instruction requires wavesize=32

v_dual_mul_f64 v[254:255], v[2:3], v[4:5] :: v_dual_add_f32 v7, v253, v3
// GFX1250: v_dual_mul_f64 v[254:255], v[2:3], v[4:5] :: v_dual_add_f32 v7, v253, v3 ; encoding: [0x02,0x41,0x88,0xcf,0xfd,0x01,0x04,0x00,0xfe,0x03,0x00,0x07]
	;; [unrolled: 4-line block ×6, first 2 shown]
// W64-ERR: :[[@LINE-2]]:1: error: instruction requires wavesize=32

v_dual_mul_f64 v[254:255], ttmp[14:15], v[4:5] :: v_dual_add_f32 v7, vcc_lo, v3
// GFX1250: v_dual_mul_f64 v[254:255], ttmp[14:15], v[4:5] :: v_dual_add_f32 v7, vcc_lo, v3 ; encoding: [0x7a,0x40,0x88,0xcf,0x6a,0x00,0x04,0x00,0xfe,0x03,0x00,0x07]
// W64-ERR: :[[@LINE-2]]:1: error: instruction requires wavesize=32

v_dual_mul_f64 v[254:255], exec, v[4:5] :: v_dual_add_f32 v7, v15, v3
// GFX1250: v_dual_mul_f64 v[254:255], exec, v[4:5] :: v_dual_add_f32 v7, v15, v3 ; encoding: [0x7e,0x40,0x88,0xcf,0x0f,0x01,0x04,0x00,0xfe,0x03,0x00,0x07]
// W64-ERR: :[[@LINE-2]]:1: error: instruction requires wavesize=32

v_dual_mul_f64 v[254:255], vcc, v[4:5] :: v_dual_add_f32 v7, exec_hi, v3
// GFX1250: v_dual_mul_f64 v[254:255], vcc, v[4:5] :: v_dual_add_f32 v7, exec_hi, v3 ; encoding: [0x6a,0x40,0x88,0xcf,0x7f,0x00,0x04,0x00,0xfe,0x03,0x00,0x07]
// W64-ERR: :[[@LINE-2]]:1: error: instruction requires wavesize=32

v_dual_mul_f64 v[254:255], src_scc, v[4:5] :: v_dual_add_f32 v7, -1, v3
// GFX1250: v_dual_mul_f64 v[254:255], src_scc, v[4:5] :: v_dual_add_f32 v7, -1, v3 ; encoding: [0xfd,0x40,0x88,0xcf,0xc1,0x00,0x04,0x00,0xfe,0x03,0x00,0x07]
// W64-ERR: :[[@LINE-2]]:1: error: instruction requires wavesize=32

v_dual_mul_f64 v[254:255], 0.5, v[8:9] :: v_dual_add_f32 v7, 0.5, v2
// GFX1250: v_dual_mul_f64 v[254:255], 0.5, v[8:9] :: v_dual_add_f32 v7, 0.5, v2 ; encoding: [0xf0,0x40,0x88,0xcf,0xf0,0x00,0x08,0x00,0xfe,0x02,0x00,0x07]
// W64-ERR: :[[@LINE-2]]:1: error: instruction requires wavesize=32

v_dual_mul_f64 v[254:255], -1, v[6:7] :: v_dual_add_f32 v7, src_scc, v5
// GFX1250: v_dual_mul_f64 v[254:255], -1, v[6:7] :: v_dual_add_f32 v7, src_scc, v5 ; encoding: [0xc1,0x40,0x88,0xcf,0xfd,0x00,0x06,0x00,0xfe,0x05,0x00,0x07]
// W64-ERR: :[[@LINE-2]]:1: error: instruction requires wavesize=32

v_dual_mul_f64 v[254:255], v[4:5], v[4:5] :: v_dual_add_nc_u32 v7, v2, v3
// GFX1250: v_dual_mul_f64 v[254:255], v[4:5], v[4:5] :: v_dual_add_nc_u32 v7, v2, v3 ; encoding: [0x04,0x01,0x89,0xcf,0x02,0x01,0x04,0x00,0xfe,0x03,0x00,0x07]
// W64-ERR: :[[@LINE-2]]:1: error: instruction requires wavesize=32

v_dual_mul_f64 v[254:255], v[2:3], v[4:5] :: v_dual_add_nc_u32 v7, v253, v3
// GFX1250: v_dual_mul_f64 v[254:255], v[2:3], v[4:5] :: v_dual_add_nc_u32 v7, v253, v3 ; encoding: [0x02,0x01,0x89,0xcf,0xfd,0x01,0x04,0x00,0xfe,0x03,0x00,0x07]
	;; [unrolled: 4-line block ×6, first 2 shown]
// W64-ERR: :[[@LINE-2]]:1: error: instruction requires wavesize=32

v_dual_mul_f64 v[254:255], ttmp[14:15], v[4:5] :: v_dual_add_nc_u32 v7, vcc_lo, v3
// GFX1250: v_dual_mul_f64 v[254:255], ttmp[14:15], v[4:5] :: v_dual_add_nc_u32 v7, vcc_lo, v3 ; encoding: [0x7a,0x00,0x89,0xcf,0x6a,0x00,0x04,0x00,0xfe,0x03,0x00,0x07]
// W64-ERR: :[[@LINE-2]]:1: error: instruction requires wavesize=32

v_dual_mul_f64 v[254:255], exec, v[4:5] :: v_dual_add_nc_u32 v7, v15, v3
// GFX1250: v_dual_mul_f64 v[254:255], exec, v[4:5] :: v_dual_add_nc_u32 v7, v15, v3 ; encoding: [0x7e,0x00,0x89,0xcf,0x0f,0x01,0x04,0x00,0xfe,0x03,0x00,0x07]
// W64-ERR: :[[@LINE-2]]:1: error: instruction requires wavesize=32

v_dual_mul_f64 v[254:255], vcc, v[4:5] :: v_dual_add_nc_u32 v7, exec_hi, v3
// GFX1250: v_dual_mul_f64 v[254:255], vcc, v[4:5] :: v_dual_add_nc_u32 v7, exec_hi, v3 ; encoding: [0x6a,0x00,0x89,0xcf,0x7f,0x00,0x04,0x00,0xfe,0x03,0x00,0x07]
// W64-ERR: :[[@LINE-2]]:1: error: instruction requires wavesize=32

v_dual_mul_f64 v[254:255], src_scc, v[4:5] :: v_dual_add_nc_u32 v7, -1, v3
// GFX1250: v_dual_mul_f64 v[254:255], src_scc, v[4:5] :: v_dual_add_nc_u32 v7, -1, v3 ; encoding: [0xfd,0x00,0x89,0xcf,0xc1,0x00,0x04,0x00,0xfe,0x03,0x00,0x07]
// W64-ERR: :[[@LINE-2]]:1: error: instruction requires wavesize=32

v_dual_mul_f64 v[254:255], 0.5, v[8:9] :: v_dual_add_nc_u32 v7, 0.5, v2
// GFX1250: v_dual_mul_f64 v[254:255], 0.5, v[8:9] :: v_dual_add_nc_u32 v7, 0.5, v2 ; encoding: [0xf0,0x00,0x89,0xcf,0xf0,0x00,0x08,0x00,0xfe,0x02,0x00,0x07]
// W64-ERR: :[[@LINE-2]]:1: error: instruction requires wavesize=32

v_dual_mul_f64 v[254:255], -1, v[6:7] :: v_dual_add_nc_u32 v7, src_scc, v5
// GFX1250: v_dual_mul_f64 v[254:255], -1, v[6:7] :: v_dual_add_nc_u32 v7, src_scc, v5 ; encoding: [0xc1,0x00,0x89,0xcf,0xfd,0x00,0x06,0x00,0xfe,0x05,0x00,0x07]
// W64-ERR: :[[@LINE-2]]:1: error: instruction requires wavesize=32

v_dual_mul_f64 v[254:255], v[4:5], v[4:5] :: v_dual_cndmask_b32 v7, v2, v3, vcc_lo
// GFX1250: v_dual_mul_f64 v[254:255], v[4:5], v[4:5] :: v_dual_cndmask_b32 v7, v2, v3, vcc_lo ; encoding: [0x04,0x91,0x88,0xcf,0x02,0x01,0x04,0x00,0xfe,0x03,0x6a,0x07]
// W64-ERR: :[[@LINE-2]]:1: error: instruction requires wavesize=32

v_dual_mul_f64 v[254:255], v[2:3], v[4:5] :: v_dual_cndmask_b32 v7, v253, v3, vcc_lo
// GFX1250: v_dual_mul_f64 v[254:255], v[2:3], v[4:5] :: v_dual_cndmask_b32 v7, v253, v3, vcc_lo ; encoding: [0x02,0x91,0x88,0xcf,0xfd,0x01,0x04,0x00,0xfe,0x03,0x6a,0x07]
	;; [unrolled: 4-line block ×6, first 2 shown]
// W64-ERR: :[[@LINE-2]]:1: error: instruction requires wavesize=32

v_dual_mul_f64 v[254:255], ttmp[14:15], v[4:5] :: v_dual_cndmask_b32 v7, v15, v3, vcc_lo
// GFX1250: v_dual_mul_f64 v[254:255], ttmp[14:15], v[4:5] :: v_dual_cndmask_b32 v7, v15, v3, vcc_lo ; encoding: [0x7a,0x90,0x88,0xcf,0x0f,0x01,0x04,0x00,0xfe,0x03,0x6a,0x07]
// W64-ERR: :[[@LINE-2]]:1: error: instruction requires wavesize=32

v_dual_mul_f64 v[254:255], exec, v[4:5] :: v_dual_cndmask_b32 v7, v10, v3, vcc_lo
// GFX1250: v_dual_mul_f64 v[254:255], exec, v[4:5] :: v_dual_cndmask_b32 v7, v10, v3, vcc_lo ; encoding: [0x7e,0x90,0x88,0xcf,0x0a,0x01,0x04,0x00,0xfe,0x03,0x6a,0x07]
// W64-ERR: :[[@LINE-2]]:1: error: instruction requires wavesize=32

v_dual_mul_f64 v[254:255], vcc, v[4:5] :: v_dual_cndmask_b32 v7, vcc_lo, v3, vcc_lo
// GFX1250: v_dual_mul_f64 v[254:255], vcc, v[4:5] :: v_dual_cndmask_b32 v7, vcc_lo, v3, vcc_lo ; encoding: [0x6a,0x90,0x88,0xcf,0x6a,0x00,0x04,0x00,0xfe,0x03,0x6a,0x07]
// W64-ERR: :[[@LINE-2]]:1: error: instruction requires wavesize=32

v_dual_mul_f64 v[254:255], src_scc, v[4:5] :: v_dual_cndmask_b32 v7, -1, v3, vcc_lo
// GFX1250: v_dual_mul_f64 v[254:255], src_scc, v[4:5] :: v_dual_cndmask_b32 v7, -1, v3, vcc_lo ; encoding: [0xfd,0x90,0x88,0xcf,0xc1,0x00,0x04,0x00,0xfe,0x03,0x6a,0x07]
// W64-ERR: :[[@LINE-2]]:1: error: instruction requires wavesize=32

v_dual_mul_f64 v[254:255], 0.5, v[8:9] :: v_dual_cndmask_b32 v7, 0.5, v2, vcc_lo
// GFX1250: v_dual_mul_f64 v[254:255], 0.5, v[8:9] :: v_dual_cndmask_b32 v7, 0.5, v2, vcc_lo ; encoding: [0xf0,0x90,0x88,0xcf,0xf0,0x00,0x08,0x00,0xfe,0x02,0x6a,0x07]
// W64-ERR: :[[@LINE-2]]:1: error: instruction requires wavesize=32

v_dual_mul_f64 v[254:255], -1, v[6:7] :: v_dual_cndmask_b32 v7, src_scc, v5, vcc_lo
// GFX1250: v_dual_mul_f64 v[254:255], -1, v[6:7] :: v_dual_cndmask_b32 v7, src_scc, v5, vcc_lo ; encoding: [0xc1,0x90,0x88,0xcf,0xfd,0x00,0x06,0x00,0xfe,0x05,0x6a,0x07]
// W64-ERR: :[[@LINE-2]]:1: error: instruction requires wavesize=32

v_dual_mul_f64 v[254:255], v[4:5], v[4:5] :: v_dual_fmac_f32 v9, v2, v3
// GFX1250: v_dual_mul_f64 v[254:255], v[4:5], v[4:5] :: v_dual_fmac_f32 v9, v2, v3 ; encoding: [0x04,0x01,0x88,0xcf,0x02,0x01,0x04,0x00,0xfe,0x03,0x00,0x09]
// W64-ERR: :[[@LINE-2]]:1: error: instruction requires wavesize=32

v_dual_mul_f64 v[254:255], v[2:3], v[4:5] :: v_dual_fmac_f32 v9, v253, v3
// GFX1250: v_dual_mul_f64 v[254:255], v[2:3], v[4:5] :: v_dual_fmac_f32 v9, v253, v3 ; encoding: [0x02,0x01,0x88,0xcf,0xfd,0x01,0x04,0x00,0xfe,0x03,0x00,0x09]
	;; [unrolled: 4-line block ×6, first 2 shown]
// W64-ERR: :[[@LINE-2]]:1: error: instruction requires wavesize=32

v_dual_mul_f64 v[254:255], ttmp[14:15], v[4:5] :: v_dual_fmac_f32 v9, vcc_lo, v3
// GFX1250: v_dual_mul_f64 v[254:255], ttmp[14:15], v[4:5] :: v_dual_fmac_f32 v9, vcc_lo, v3 ; encoding: [0x7a,0x00,0x88,0xcf,0x6a,0x00,0x04,0x00,0xfe,0x03,0x00,0x09]
// W64-ERR: :[[@LINE-2]]:1: error: instruction requires wavesize=32

v_dual_mul_f64 v[254:255], exec, v[4:5] :: v_dual_fmac_f32 v9, v15, v3
// GFX1250: v_dual_mul_f64 v[254:255], exec, v[4:5] :: v_dual_fmac_f32 v9, v15, v3 ; encoding: [0x7e,0x00,0x88,0xcf,0x0f,0x01,0x04,0x00,0xfe,0x03,0x00,0x09]
// W64-ERR: :[[@LINE-2]]:1: error: instruction requires wavesize=32

v_dual_mul_f64 v[254:255], vcc, v[4:5] :: v_dual_fmac_f32 v9, exec_hi, v3
// GFX1250: v_dual_mul_f64 v[254:255], vcc, v[4:5] :: v_dual_fmac_f32 v9, exec_hi, v3 ; encoding: [0x6a,0x00,0x88,0xcf,0x7f,0x00,0x04,0x00,0xfe,0x03,0x00,0x09]
// W64-ERR: :[[@LINE-2]]:1: error: instruction requires wavesize=32

v_dual_mul_f64 v[254:255], src_scc, v[4:5] :: v_dual_fmac_f32 v9, -1, v3
// GFX1250: v_dual_mul_f64 v[254:255], src_scc, v[4:5] :: v_dual_fmac_f32 v9, -1, v3 ; encoding: [0xfd,0x00,0x88,0xcf,0xc1,0x00,0x04,0x00,0xfe,0x03,0x00,0x09]
// W64-ERR: :[[@LINE-2]]:1: error: instruction requires wavesize=32

v_dual_mul_f64 v[254:255], 0.5, v[8:9] :: v_dual_fmac_f32 v9, 0.5, v2
// GFX1250: v_dual_mul_f64 v[254:255], 0.5, v[8:9] :: v_dual_fmac_f32 v9, 0.5, v2 ; encoding: [0xf0,0x00,0x88,0xcf,0xf0,0x00,0x08,0x00,0xfe,0x02,0x00,0x09]
// W64-ERR: :[[@LINE-2]]:1: error: instruction requires wavesize=32

v_dual_mul_f64 v[254:255], -1, v[6:7] :: v_dual_fmac_f32 v9, src_scc, v5
// GFX1250: v_dual_mul_f64 v[254:255], -1, v[6:7] :: v_dual_fmac_f32 v9, src_scc, v5 ; encoding: [0xc1,0x00,0x88,0xcf,0xfd,0x00,0x06,0x00,0xfe,0x05,0x00,0x09]
// W64-ERR: :[[@LINE-2]]:1: error: instruction requires wavesize=32

v_dual_mul_f64 v[254:255], v[4:5], v[4:5] :: v_dual_lshlrev_b32 v7, v2, v3
// GFX1250: v_dual_mul_f64 v[254:255], v[4:5], v[4:5] :: v_dual_lshlrev_b32 v7, v2, v3 ; encoding: [0x04,0x11,0x89,0xcf,0x02,0x01,0x04,0x00,0xfe,0x03,0x00,0x07]
// W64-ERR: :[[@LINE-2]]:1: error: instruction requires wavesize=32

v_dual_mul_f64 v[254:255], v[2:3], v[4:5] :: v_dual_lshlrev_b32 v7, v253, v3
// GFX1250: v_dual_mul_f64 v[254:255], v[2:3], v[4:5] :: v_dual_lshlrev_b32 v7, v253, v3 ; encoding: [0x02,0x11,0x89,0xcf,0xfd,0x01,0x04,0x00,0xfe,0x03,0x00,0x07]
	;; [unrolled: 4-line block ×6, first 2 shown]
// W64-ERR: :[[@LINE-2]]:1: error: instruction requires wavesize=32

v_dual_mul_f64 v[254:255], ttmp[14:15], v[4:5] :: v_dual_lshlrev_b32 v7, vcc_lo, v3
// GFX1250: v_dual_mul_f64 v[254:255], ttmp[14:15], v[4:5] :: v_dual_lshlrev_b32 v7, vcc_lo, v3 ; encoding: [0x7a,0x10,0x89,0xcf,0x6a,0x00,0x04,0x00,0xfe,0x03,0x00,0x07]
// W64-ERR: :[[@LINE-2]]:1: error: instruction requires wavesize=32

v_dual_mul_f64 v[254:255], exec, v[4:5] :: v_dual_lshlrev_b32 v7, v15, v3
// GFX1250: v_dual_mul_f64 v[254:255], exec, v[4:5] :: v_dual_lshlrev_b32 v7, v15, v3 ; encoding: [0x7e,0x10,0x89,0xcf,0x0f,0x01,0x04,0x00,0xfe,0x03,0x00,0x07]
// W64-ERR: :[[@LINE-2]]:1: error: instruction requires wavesize=32

v_dual_mul_f64 v[254:255], vcc, v[4:5] :: v_dual_lshlrev_b32 v7, exec_hi, v3
// GFX1250: v_dual_mul_f64 v[254:255], vcc, v[4:5] :: v_dual_lshlrev_b32 v7, exec_hi, v3 ; encoding: [0x6a,0x10,0x89,0xcf,0x7f,0x00,0x04,0x00,0xfe,0x03,0x00,0x07]
// W64-ERR: :[[@LINE-2]]:1: error: instruction requires wavesize=32

v_dual_mul_f64 v[254:255], src_scc, v[4:5] :: v_dual_lshlrev_b32 v7, -1, v3
// GFX1250: v_dual_mul_f64 v[254:255], src_scc, v[4:5] :: v_dual_lshlrev_b32 v7, -1, v3 ; encoding: [0xfd,0x10,0x89,0xcf,0xc1,0x00,0x04,0x00,0xfe,0x03,0x00,0x07]
// W64-ERR: :[[@LINE-2]]:1: error: instruction requires wavesize=32

v_dual_mul_f64 v[254:255], 0.5, v[8:9] :: v_dual_lshlrev_b32 v7, 0.5, v2
// GFX1250: v_dual_mul_f64 v[254:255], 0.5, v[8:9] :: v_dual_lshlrev_b32 v7, 0.5, v2 ; encoding: [0xf0,0x10,0x89,0xcf,0xf0,0x00,0x08,0x00,0xfe,0x02,0x00,0x07]
// W64-ERR: :[[@LINE-2]]:1: error: instruction requires wavesize=32

v_dual_mul_f64 v[254:255], -1, v[6:7] :: v_dual_lshlrev_b32 v7, src_scc, v5
// GFX1250: v_dual_mul_f64 v[254:255], -1, v[6:7] :: v_dual_lshlrev_b32 v7, src_scc, v5 ; encoding: [0xc1,0x10,0x89,0xcf,0xfd,0x00,0x06,0x00,0xfe,0x05,0x00,0x07]
// W64-ERR: :[[@LINE-2]]:1: error: instruction requires wavesize=32

v_dual_mul_f64 v[254:255], v[4:5], v[4:5] :: v_dual_max_num_f32 v7, v2, v3
// GFX1250: v_dual_mul_f64 v[254:255], v[4:5], v[4:5] :: v_dual_max_num_f32 v7, v2, v3 ; encoding: [0x04,0xa1,0x88,0xcf,0x02,0x01,0x04,0x00,0xfe,0x03,0x00,0x07]
// W64-ERR: :[[@LINE-2]]:1: error: instruction requires wavesize=32

v_dual_mul_f64 v[254:255], v[2:3], v[4:5] :: v_dual_max_num_f32 v7, v253, v3
// GFX1250: v_dual_mul_f64 v[254:255], v[2:3], v[4:5] :: v_dual_max_num_f32 v7, v253, v3 ; encoding: [0x02,0xa1,0x88,0xcf,0xfd,0x01,0x04,0x00,0xfe,0x03,0x00,0x07]
	;; [unrolled: 4-line block ×6, first 2 shown]
// W64-ERR: :[[@LINE-2]]:1: error: instruction requires wavesize=32

v_dual_mul_f64 v[254:255], ttmp[14:15], v[4:5] :: v_dual_max_num_f32 v7, vcc_lo, v3
// GFX1250: v_dual_mul_f64 v[254:255], ttmp[14:15], v[4:5] :: v_dual_max_num_f32 v7, vcc_lo, v3 ; encoding: [0x7a,0xa0,0x88,0xcf,0x6a,0x00,0x04,0x00,0xfe,0x03,0x00,0x07]
// W64-ERR: :[[@LINE-2]]:1: error: instruction requires wavesize=32

v_dual_mul_f64 v[254:255], exec, v[4:5] :: v_dual_max_num_f32 v7, v15, v3
// GFX1250: v_dual_mul_f64 v[254:255], exec, v[4:5] :: v_dual_max_num_f32 v7, v15, v3 ; encoding: [0x7e,0xa0,0x88,0xcf,0x0f,0x01,0x04,0x00,0xfe,0x03,0x00,0x07]
// W64-ERR: :[[@LINE-2]]:1: error: instruction requires wavesize=32

v_dual_mul_f64 v[254:255], vcc, v[4:5] :: v_dual_max_num_f32 v7, exec_hi, v3
// GFX1250: v_dual_mul_f64 v[254:255], vcc, v[4:5] :: v_dual_max_num_f32 v7, exec_hi, v3 ; encoding: [0x6a,0xa0,0x88,0xcf,0x7f,0x00,0x04,0x00,0xfe,0x03,0x00,0x07]
// W64-ERR: :[[@LINE-2]]:1: error: instruction requires wavesize=32

v_dual_mul_f64 v[254:255], src_scc, v[4:5] :: v_dual_max_num_f32 v7, -1, v3
// GFX1250: v_dual_mul_f64 v[254:255], src_scc, v[4:5] :: v_dual_max_num_f32 v7, -1, v3 ; encoding: [0xfd,0xa0,0x88,0xcf,0xc1,0x00,0x04,0x00,0xfe,0x03,0x00,0x07]
// W64-ERR: :[[@LINE-2]]:1: error: instruction requires wavesize=32

v_dual_mul_f64 v[254:255], 0.5, v[8:9] :: v_dual_max_num_f32 v7, 0.5, v2
// GFX1250: v_dual_mul_f64 v[254:255], 0.5, v[8:9] :: v_dual_max_num_f32 v7, 0.5, v2 ; encoding: [0xf0,0xa0,0x88,0xcf,0xf0,0x00,0x08,0x00,0xfe,0x02,0x00,0x07]
// W64-ERR: :[[@LINE-2]]:1: error: instruction requires wavesize=32

v_dual_mul_f64 v[254:255], -1, v[6:7] :: v_dual_max_num_f32 v7, src_scc, v5
// GFX1250: v_dual_mul_f64 v[254:255], -1, v[6:7] :: v_dual_max_num_f32 v7, src_scc, v5 ; encoding: [0xc1,0xa0,0x88,0xcf,0xfd,0x00,0x06,0x00,0xfe,0x05,0x00,0x07]
// W64-ERR: :[[@LINE-2]]:1: error: instruction requires wavesize=32

v_dual_mul_f64 v[254:255], v[4:5], v[4:5] :: v_dual_min_num_f32 v7, v2, v3
// GFX1250: v_dual_mul_f64 v[254:255], v[4:5], v[4:5] :: v_dual_min_num_f32 v7, v2, v3 ; encoding: [0x04,0xb1,0x88,0xcf,0x02,0x01,0x04,0x00,0xfe,0x03,0x00,0x07]
// W64-ERR: :[[@LINE-2]]:1: error: instruction requires wavesize=32

v_dual_mul_f64 v[254:255], v[2:3], v[4:5] :: v_dual_min_num_f32 v7, v253, v3
// GFX1250: v_dual_mul_f64 v[254:255], v[2:3], v[4:5] :: v_dual_min_num_f32 v7, v253, v3 ; encoding: [0x02,0xb1,0x88,0xcf,0xfd,0x01,0x04,0x00,0xfe,0x03,0x00,0x07]
	;; [unrolled: 4-line block ×6, first 2 shown]
// W64-ERR: :[[@LINE-2]]:1: error: instruction requires wavesize=32

v_dual_mul_f64 v[254:255], ttmp[14:15], v[4:5] :: v_dual_min_num_f32 v7, vcc_lo, v3
// GFX1250: v_dual_mul_f64 v[254:255], ttmp[14:15], v[4:5] :: v_dual_min_num_f32 v7, vcc_lo, v3 ; encoding: [0x7a,0xb0,0x88,0xcf,0x6a,0x00,0x04,0x00,0xfe,0x03,0x00,0x07]
// W64-ERR: :[[@LINE-2]]:1: error: instruction requires wavesize=32

v_dual_mul_f64 v[254:255], exec, v[4:5] :: v_dual_min_num_f32 v7, v15, v3
// GFX1250: v_dual_mul_f64 v[254:255], exec, v[4:5] :: v_dual_min_num_f32 v7, v15, v3 ; encoding: [0x7e,0xb0,0x88,0xcf,0x0f,0x01,0x04,0x00,0xfe,0x03,0x00,0x07]
// W64-ERR: :[[@LINE-2]]:1: error: instruction requires wavesize=32

v_dual_mul_f64 v[254:255], vcc, v[4:5] :: v_dual_min_num_f32 v7, exec_hi, v3
// GFX1250: v_dual_mul_f64 v[254:255], vcc, v[4:5] :: v_dual_min_num_f32 v7, exec_hi, v3 ; encoding: [0x6a,0xb0,0x88,0xcf,0x7f,0x00,0x04,0x00,0xfe,0x03,0x00,0x07]
// W64-ERR: :[[@LINE-2]]:1: error: instruction requires wavesize=32

v_dual_mul_f64 v[254:255], src_scc, v[4:5] :: v_dual_min_num_f32 v7, -1, v3
// GFX1250: v_dual_mul_f64 v[254:255], src_scc, v[4:5] :: v_dual_min_num_f32 v7, -1, v3 ; encoding: [0xfd,0xb0,0x88,0xcf,0xc1,0x00,0x04,0x00,0xfe,0x03,0x00,0x07]
// W64-ERR: :[[@LINE-2]]:1: error: instruction requires wavesize=32

v_dual_mul_f64 v[254:255], 0.5, v[8:9] :: v_dual_min_num_f32 v7, 0.5, v2
// GFX1250: v_dual_mul_f64 v[254:255], 0.5, v[8:9] :: v_dual_min_num_f32 v7, 0.5, v2 ; encoding: [0xf0,0xb0,0x88,0xcf,0xf0,0x00,0x08,0x00,0xfe,0x02,0x00,0x07]
// W64-ERR: :[[@LINE-2]]:1: error: instruction requires wavesize=32

v_dual_mul_f64 v[254:255], -1, v[6:7] :: v_dual_min_num_f32 v7, src_scc, v5
// GFX1250: v_dual_mul_f64 v[254:255], -1, v[6:7] :: v_dual_min_num_f32 v7, src_scc, v5 ; encoding: [0xc1,0xb0,0x88,0xcf,0xfd,0x00,0x06,0x00,0xfe,0x05,0x00,0x07]
// W64-ERR: :[[@LINE-2]]:1: error: instruction requires wavesize=32

v_dual_mul_f64 v[254:255], v[4:5], v[254:255] :: v_dual_mov_b32 v7, v3
// GFX1250: v_dual_mul_f64 v[254:255], v[4:5], v[254:255] :: v_dual_mov_b32 v7, v3 ; encoding: [0x04,0x81,0x88,0xcf,0x03,0x01,0xfe,0x00,0xfe,0x00,0x00,0x07]
// W64-ERR: :[[@LINE-2]]:1: error: instruction requires wavesize=32

v_dual_mul_f64 v[254:255], v[2:3], v[254:255] :: v_dual_mov_b32 v7, v253
// GFX1250: v_dual_mul_f64 v[254:255], v[2:3], v[254:255] :: v_dual_mov_b32 v7, v253 ; encoding: [0x02,0x81,0x88,0xcf,0xfd,0x01,0xfe,0x00,0xfe,0x00,0x00,0x07]
	;; [unrolled: 4-line block ×7, first 2 shown]
// W64-ERR: :[[@LINE-2]]:1: error: instruction requires wavesize=32

v_dual_mul_f64 v[254:255], ttmp[14:15], v[254:255] :: v_dual_mov_b32 v7, vcc_lo
// GFX1250: v_dual_mul_f64 v[254:255], ttmp[14:15], v[254:255] :: v_dual_mov_b32 v7, vcc_lo ; encoding: [0x7a,0x80,0x88,0xcf,0x6a,0x00,0xfe,0x00,0xfe,0x00,0x00,0x07]
// W64-ERR: :[[@LINE-2]]:1: error: instruction requires wavesize=32

v_dual_mul_f64 v[254:255], exec, v[254:255] :: v_dual_mov_b32 v7, ttmp15
// GFX1250: v_dual_mul_f64 v[254:255], exec, v[254:255] :: v_dual_mov_b32 v7, ttmp15 ; encoding: [0x7e,0x80,0x88,0xcf,0x7b,0x00,0xfe,0x00,0xfe,0x00,0x00,0x07]
// W64-ERR: :[[@LINE-2]]:1: error: instruction requires wavesize=32

v_dual_mul_f64 v[254:255], vcc, v[254:255] :: v_dual_mov_b32 v7, exec_hi
// GFX1250: v_dual_mul_f64 v[254:255], vcc, v[254:255] :: v_dual_mov_b32 v7, exec_hi ; encoding: [0x6a,0x80,0x88,0xcf,0x7f,0x00,0xfe,0x00,0xfe,0x00,0x00,0x07]
// W64-ERR: :[[@LINE-2]]:1: error: instruction requires wavesize=32

v_dual_mul_f64 v[254:255], src_scc, v[254:255] :: v_dual_mov_b32 v7, -1
// GFX1250: v_dual_mul_f64 v[254:255], src_scc, v[254:255] :: v_dual_mov_b32 v7, -1 ; encoding: [0xfd,0x80,0x88,0xcf,0xc1,0x00,0xfe,0x00,0xfe,0x00,0x00,0x07]
// W64-ERR: :[[@LINE-2]]:1: error: instruction requires wavesize=32

v_dual_mul_f64 v[254:255], 0.5, v[8:9] :: v_dual_mov_b32 v7, 0.5
// GFX1250: v_dual_mul_f64 v[254:255], 0.5, v[8:9] :: v_dual_mov_b32 v7, 0.5 ; encoding: [0xf0,0x80,0x88,0xcf,0xf0,0x00,0x08,0x00,0xfe,0x00,0x00,0x07]
// W64-ERR: :[[@LINE-2]]:1: error: instruction requires wavesize=32

v_dual_mul_f64 v[254:255], -1, v[6:7] :: v_dual_mov_b32 v7, src_scc
// GFX1250: v_dual_mul_f64 v[254:255], -1, v[6:7] :: v_dual_mov_b32 v7, src_scc ; encoding: [0xc1,0x80,0x88,0xcf,0xfd,0x00,0x06,0x00,0xfe,0x00,0x00,0x07]
// W64-ERR: :[[@LINE-2]]:1: error: instruction requires wavesize=32

v_dual_mul_f64 v[254:255], v[4:5], v[4:5] :: v_dual_mul_dx9_zero_f32 v7, v2, v3
// GFX1250: v_dual_mul_f64 v[254:255], v[4:5], v[4:5] :: v_dual_mul_dx9_zero_f32 v7, v2, v3 ; encoding: [0x04,0x71,0x88,0xcf,0x02,0x01,0x04,0x00,0xfe,0x03,0x00,0x07]
// W64-ERR: :[[@LINE-2]]:1: error: instruction requires wavesize=32

v_dual_mul_f64 v[254:255], v[2:3], v[4:5] :: v_dual_mul_dx9_zero_f32 v7, v253, v3
// GFX1250: v_dual_mul_f64 v[254:255], v[2:3], v[4:5] :: v_dual_mul_dx9_zero_f32 v7, v253, v3 ; encoding: [0x02,0x71,0x88,0xcf,0xfd,0x01,0x04,0x00,0xfe,0x03,0x00,0x07]
	;; [unrolled: 4-line block ×6, first 2 shown]
// W64-ERR: :[[@LINE-2]]:1: error: instruction requires wavesize=32

v_dual_mul_f64 v[254:255], ttmp[14:15], v[4:5] :: v_dual_mul_dx9_zero_f32 v7, vcc_lo, v3
// GFX1250: v_dual_mul_f64 v[254:255], ttmp[14:15], v[4:5] :: v_dual_mul_dx9_zero_f32 v7, vcc_lo, v3 ; encoding: [0x7a,0x70,0x88,0xcf,0x6a,0x00,0x04,0x00,0xfe,0x03,0x00,0x07]
// W64-ERR: :[[@LINE-2]]:1: error: instruction requires wavesize=32

v_dual_mul_f64 v[254:255], exec, v[4:5] :: v_dual_mul_dx9_zero_f32 v7, v15, v3
// GFX1250: v_dual_mul_f64 v[254:255], exec, v[4:5] :: v_dual_mul_dx9_zero_f32 v7, v15, v3 ; encoding: [0x7e,0x70,0x88,0xcf,0x0f,0x01,0x04,0x00,0xfe,0x03,0x00,0x07]
// W64-ERR: :[[@LINE-2]]:1: error: instruction requires wavesize=32

v_dual_mul_f64 v[254:255], vcc, v[4:5] :: v_dual_mul_dx9_zero_f32 v7, exec_hi, v3
// GFX1250: v_dual_mul_f64 v[254:255], vcc, v[4:5] :: v_dual_mul_dx9_zero_f32 v7, exec_hi, v3 ; encoding: [0x6a,0x70,0x88,0xcf,0x7f,0x00,0x04,0x00,0xfe,0x03,0x00,0x07]
// W64-ERR: :[[@LINE-2]]:1: error: instruction requires wavesize=32

v_dual_mul_f64 v[254:255], src_scc, v[4:5] :: v_dual_mul_dx9_zero_f32 v7, -1, v3
// GFX1250: v_dual_mul_f64 v[254:255], src_scc, v[4:5] :: v_dual_mul_dx9_zero_f32 v7, -1, v3 ; encoding: [0xfd,0x70,0x88,0xcf,0xc1,0x00,0x04,0x00,0xfe,0x03,0x00,0x07]
// W64-ERR: :[[@LINE-2]]:1: error: instruction requires wavesize=32

v_dual_mul_f64 v[254:255], 0.5, v[8:9] :: v_dual_mul_dx9_zero_f32 v7, 0.5, v2
// GFX1250: v_dual_mul_f64 v[254:255], 0.5, v[8:9] :: v_dual_mul_dx9_zero_f32 v7, 0.5, v2 ; encoding: [0xf0,0x70,0x88,0xcf,0xf0,0x00,0x08,0x00,0xfe,0x02,0x00,0x07]
// W64-ERR: :[[@LINE-2]]:1: error: instruction requires wavesize=32

v_dual_mul_f64 v[254:255], -1, v[6:7] :: v_dual_mul_dx9_zero_f32 v7, src_scc, v5
// GFX1250: v_dual_mul_f64 v[254:255], -1, v[6:7] :: v_dual_mul_dx9_zero_f32 v7, src_scc, v5 ; encoding: [0xc1,0x70,0x88,0xcf,0xfd,0x00,0x06,0x00,0xfe,0x05,0x00,0x07]
// W64-ERR: :[[@LINE-2]]:1: error: instruction requires wavesize=32

v_dual_mul_f64 v[254:255], v[4:5], v[4:5] :: v_dual_mul_f32 v7, v2, v3
// GFX1250: v_dual_mul_f64 v[254:255], v[4:5], v[4:5] :: v_dual_mul_f32 v7, v2, v3 ; encoding: [0x04,0x31,0x88,0xcf,0x02,0x01,0x04,0x00,0xfe,0x03,0x00,0x07]
// W64-ERR: :[[@LINE-2]]:1: error: instruction requires wavesize=32

v_dual_mul_f64 v[254:255], v[2:3], v[4:5] :: v_dual_mul_f32 v7, v253, v3
// GFX1250: v_dual_mul_f64 v[254:255], v[2:3], v[4:5] :: v_dual_mul_f32 v7, v253, v3 ; encoding: [0x02,0x31,0x88,0xcf,0xfd,0x01,0x04,0x00,0xfe,0x03,0x00,0x07]
	;; [unrolled: 4-line block ×6, first 2 shown]
// W64-ERR: :[[@LINE-2]]:1: error: instruction requires wavesize=32

v_dual_mul_f64 v[254:255], ttmp[14:15], v[4:5] :: v_dual_mul_f32 v7, vcc_lo, v3
// GFX1250: v_dual_mul_f64 v[254:255], ttmp[14:15], v[4:5] :: v_dual_mul_f32 v7, vcc_lo, v3 ; encoding: [0x7a,0x30,0x88,0xcf,0x6a,0x00,0x04,0x00,0xfe,0x03,0x00,0x07]
// W64-ERR: :[[@LINE-2]]:1: error: instruction requires wavesize=32

v_dual_mul_f64 v[254:255], exec, v[4:5] :: v_dual_mul_f32 v7, v15, v3
// GFX1250: v_dual_mul_f64 v[254:255], exec, v[4:5] :: v_dual_mul_f32 v7, v15, v3 ; encoding: [0x7e,0x30,0x88,0xcf,0x0f,0x01,0x04,0x00,0xfe,0x03,0x00,0x07]
// W64-ERR: :[[@LINE-2]]:1: error: instruction requires wavesize=32

v_dual_mul_f64 v[254:255], vcc, v[4:5] :: v_dual_mul_f32 v7, exec_hi, v3
// GFX1250: v_dual_mul_f64 v[254:255], vcc, v[4:5] :: v_dual_mul_f32 v7, exec_hi, v3 ; encoding: [0x6a,0x30,0x88,0xcf,0x7f,0x00,0x04,0x00,0xfe,0x03,0x00,0x07]
// W64-ERR: :[[@LINE-2]]:1: error: instruction requires wavesize=32

v_dual_mul_f64 v[254:255], src_scc, v[4:5] :: v_dual_mul_f32 v7, -1, v3
// GFX1250: v_dual_mul_f64 v[254:255], src_scc, v[4:5] :: v_dual_mul_f32 v7, -1, v3 ; encoding: [0xfd,0x30,0x88,0xcf,0xc1,0x00,0x04,0x00,0xfe,0x03,0x00,0x07]
// W64-ERR: :[[@LINE-2]]:1: error: instruction requires wavesize=32

v_dual_mul_f64 v[254:255], 0.5, v[8:9] :: v_dual_mul_f32 v7, 0.5, v2
// GFX1250: v_dual_mul_f64 v[254:255], 0.5, v[8:9] :: v_dual_mul_f32 v7, 0.5, v2 ; encoding: [0xf0,0x30,0x88,0xcf,0xf0,0x00,0x08,0x00,0xfe,0x02,0x00,0x07]
// W64-ERR: :[[@LINE-2]]:1: error: instruction requires wavesize=32

v_dual_mul_f64 v[254:255], -1, v[6:7] :: v_dual_mul_f32 v7, src_scc, v5
// GFX1250: v_dual_mul_f64 v[254:255], -1, v[6:7] :: v_dual_mul_f32 v7, src_scc, v5 ; encoding: [0xc1,0x30,0x88,0xcf,0xfd,0x00,0x06,0x00,0xfe,0x05,0x00,0x07]
// W64-ERR: :[[@LINE-2]]:1: error: instruction requires wavesize=32

v_dual_mul_f64 v[254:255], v[4:5], v[4:5] :: v_dual_sub_f32 v7, v2, v3
// GFX1250: v_dual_mul_f64 v[254:255], v[4:5], v[4:5] :: v_dual_sub_f32 v7, v2, v3 ; encoding: [0x04,0x51,0x88,0xcf,0x02,0x01,0x04,0x00,0xfe,0x03,0x00,0x07]
// W64-ERR: :[[@LINE-2]]:1: error: instruction requires wavesize=32

v_dual_mul_f64 v[254:255], v[2:3], v[4:5] :: v_dual_sub_f32 v7, v253, v3
// GFX1250: v_dual_mul_f64 v[254:255], v[2:3], v[4:5] :: v_dual_sub_f32 v7, v253, v3 ; encoding: [0x02,0x51,0x88,0xcf,0xfd,0x01,0x04,0x00,0xfe,0x03,0x00,0x07]
	;; [unrolled: 4-line block ×6, first 2 shown]
// W64-ERR: :[[@LINE-2]]:1: error: instruction requires wavesize=32

v_dual_mul_f64 v[254:255], ttmp[14:15], v[4:5] :: v_dual_sub_f32 v7, vcc_lo, v3
// GFX1250: v_dual_mul_f64 v[254:255], ttmp[14:15], v[4:5] :: v_dual_sub_f32 v7, vcc_lo, v3 ; encoding: [0x7a,0x50,0x88,0xcf,0x6a,0x00,0x04,0x00,0xfe,0x03,0x00,0x07]
// W64-ERR: :[[@LINE-2]]:1: error: instruction requires wavesize=32

v_dual_mul_f64 v[254:255], exec, v[4:5] :: v_dual_sub_f32 v7, v15, v3
// GFX1250: v_dual_mul_f64 v[254:255], exec, v[4:5] :: v_dual_sub_f32 v7, v15, v3 ; encoding: [0x7e,0x50,0x88,0xcf,0x0f,0x01,0x04,0x00,0xfe,0x03,0x00,0x07]
// W64-ERR: :[[@LINE-2]]:1: error: instruction requires wavesize=32

v_dual_mul_f64 v[254:255], vcc, v[4:5] :: v_dual_sub_f32 v7, exec_hi, v3
// GFX1250: v_dual_mul_f64 v[254:255], vcc, v[4:5] :: v_dual_sub_f32 v7, exec_hi, v3 ; encoding: [0x6a,0x50,0x88,0xcf,0x7f,0x00,0x04,0x00,0xfe,0x03,0x00,0x07]
// W64-ERR: :[[@LINE-2]]:1: error: instruction requires wavesize=32

v_dual_mul_f64 v[254:255], src_scc, v[4:5] :: v_dual_sub_f32 v7, -1, v3
// GFX1250: v_dual_mul_f64 v[254:255], src_scc, v[4:5] :: v_dual_sub_f32 v7, -1, v3 ; encoding: [0xfd,0x50,0x88,0xcf,0xc1,0x00,0x04,0x00,0xfe,0x03,0x00,0x07]
// W64-ERR: :[[@LINE-2]]:1: error: instruction requires wavesize=32

v_dual_mul_f64 v[254:255], 0.5, v[8:9] :: v_dual_sub_f32 v7, 0.5, v2
// GFX1250: v_dual_mul_f64 v[254:255], 0.5, v[8:9] :: v_dual_sub_f32 v7, 0.5, v2 ; encoding: [0xf0,0x50,0x88,0xcf,0xf0,0x00,0x08,0x00,0xfe,0x02,0x00,0x07]
// W64-ERR: :[[@LINE-2]]:1: error: instruction requires wavesize=32

v_dual_mul_f64 v[254:255], -1, v[6:7] :: v_dual_sub_f32 v7, src_scc, v5
// GFX1250: v_dual_mul_f64 v[254:255], -1, v[6:7] :: v_dual_sub_f32 v7, src_scc, v5 ; encoding: [0xc1,0x50,0x88,0xcf,0xfd,0x00,0x06,0x00,0xfe,0x05,0x00,0x07]
// W64-ERR: :[[@LINE-2]]:1: error: instruction requires wavesize=32

v_dual_mul_f64 v[254:255], v[4:5], v[4:5] :: v_dual_subrev_f32 v7, v2, v3
// GFX1250: v_dual_mul_f64 v[254:255], v[4:5], v[4:5] :: v_dual_subrev_f32 v7, v2, v3 ; encoding: [0x04,0x61,0x88,0xcf,0x02,0x01,0x04,0x00,0xfe,0x03,0x00,0x07]
// W64-ERR: :[[@LINE-2]]:1: error: instruction requires wavesize=32

v_dual_mul_f64 v[254:255], v[2:3], v[4:5] :: v_dual_subrev_f32 v7, v253, v3
// GFX1250: v_dual_mul_f64 v[254:255], v[2:3], v[4:5] :: v_dual_subrev_f32 v7, v253, v3 ; encoding: [0x02,0x61,0x88,0xcf,0xfd,0x01,0x04,0x00,0xfe,0x03,0x00,0x07]
	;; [unrolled: 4-line block ×6, first 2 shown]
// W64-ERR: :[[@LINE-2]]:1: error: instruction requires wavesize=32

v_dual_mul_f64 v[254:255], ttmp[14:15], v[4:5] :: v_dual_subrev_f32 v7, vcc_lo, v3
// GFX1250: v_dual_mul_f64 v[254:255], ttmp[14:15], v[4:5] :: v_dual_subrev_f32 v7, vcc_lo, v3 ; encoding: [0x7a,0x60,0x88,0xcf,0x6a,0x00,0x04,0x00,0xfe,0x03,0x00,0x07]
// W64-ERR: :[[@LINE-2]]:1: error: instruction requires wavesize=32

v_dual_mul_f64 v[254:255], exec, v[4:5] :: v_dual_subrev_f32 v7, v15, v3
// GFX1250: v_dual_mul_f64 v[254:255], exec, v[4:5] :: v_dual_subrev_f32 v7, v15, v3 ; encoding: [0x7e,0x60,0x88,0xcf,0x0f,0x01,0x04,0x00,0xfe,0x03,0x00,0x07]
// W64-ERR: :[[@LINE-2]]:1: error: instruction requires wavesize=32

v_dual_mul_f64 v[254:255], vcc, v[4:5] :: v_dual_subrev_f32 v7, exec_hi, v3
// GFX1250: v_dual_mul_f64 v[254:255], vcc, v[4:5] :: v_dual_subrev_f32 v7, exec_hi, v3 ; encoding: [0x6a,0x60,0x88,0xcf,0x7f,0x00,0x04,0x00,0xfe,0x03,0x00,0x07]
// W64-ERR: :[[@LINE-2]]:1: error: instruction requires wavesize=32

v_dual_mul_f64 v[254:255], src_scc, v[4:5] :: v_dual_subrev_f32 v7, -1, v3
// GFX1250: v_dual_mul_f64 v[254:255], src_scc, v[4:5] :: v_dual_subrev_f32 v7, -1, v3 ; encoding: [0xfd,0x60,0x88,0xcf,0xc1,0x00,0x04,0x00,0xfe,0x03,0x00,0x07]
// W64-ERR: :[[@LINE-2]]:1: error: instruction requires wavesize=32

v_dual_mul_f64 v[254:255], 0.5, v[8:9] :: v_dual_subrev_f32 v7, 0.5, v2
// GFX1250: v_dual_mul_f64 v[254:255], 0.5, v[8:9] :: v_dual_subrev_f32 v7, 0.5, v2 ; encoding: [0xf0,0x60,0x88,0xcf,0xf0,0x00,0x08,0x00,0xfe,0x02,0x00,0x07]
// W64-ERR: :[[@LINE-2]]:1: error: instruction requires wavesize=32

v_dual_mul_f64 v[254:255], -1, v[6:7] :: v_dual_subrev_f32 v7, src_scc, v5
// GFX1250: v_dual_mul_f64 v[254:255], -1, v[6:7] :: v_dual_subrev_f32 v7, src_scc, v5 ; encoding: [0xc1,0x60,0x88,0xcf,0xfd,0x00,0x06,0x00,0xfe,0x05,0x00,0x07]
// W64-ERR: :[[@LINE-2]]:1: error: instruction requires wavesize=32

v_dual_mul_f64 v[2:3], v[6:7], v[4:5] :: v_dual_fma_f32 v9, v1, v14, v4
// GFX1250: v_dual_mul_f64 v[2:3], v[6:7], v[4:5] :: v_dual_fma_f32 v9, v1, v14, v4 ; encoding: [0x06,0x31,0x89,0xcf,0x01,0x01,0x04,0x00,0x02,0x0e,0x04,0x09]
// W64-ERR: :[[@LINE-2]]:1: error: instruction requires wavesize=32

v_dual_mul_f64 v[2:3], v[6:7], v[4:5] :: v_dual_sub_nc_u32 v9, v1, v14
// GFX1250: v_dual_mul_f64 v[2:3], v[6:7], v[4:5] :: v_dual_sub_nc_u32 v9, v1, v14 ; encoding: [0x06,0x41,0x89,0xcf,0x01,0x01,0x04,0x00,0x02,0x0e,0x00,0x09]
// W64-ERR: :[[@LINE-2]]:1: error: instruction requires wavesize=32

v_dual_mul_f64 v[2:3], v[6:7], v[4:5] :: v_dual_lshrrev_b32 v9, v1, v14
// GFX1250: v_dual_mul_f64 v[2:3], v[6:7], v[4:5] :: v_dual_lshrrev_b32 v9, v1, v14 ; encoding: [0x06,0x51,0x89,0xcf,0x01,0x01,0x04,0x00,0x02,0x0e,0x00,0x09]
// W64-ERR: :[[@LINE-2]]:1: error: instruction requires wavesize=32

v_dual_mul_f64 v[2:3], v[6:7], v[4:5] :: v_dual_ashrrev_i32 v9, v1, v14
// GFX1250: v_dual_mul_f64 v[2:3], v[6:7], v[4:5] :: v_dual_ashrrev_i32 v9, v1, v14 ; encoding: [0x06,0x61,0x89,0xcf,0x01,0x01,0x04,0x00,0x02,0x0e,0x00,0x09]
// W64-ERR: :[[@LINE-2]]:1: error: instruction requires wavesize=32

v_dual_mul_f64 v[2:3], v[6:7], v[4:5] :: v_dual_bitop2_b32 v7, v1, v3 bitop3:0x93
// GFX1250: v_dual_mul_f64 v[2:3], v[6:7], v[4:5] :: v_dual_bitop2_b32 v7, v1, v3 bitop3:0x93 ; encoding: [0x06,0x21,0x89,0xcf,0x01,0x01,0x04,0x00,0x02,0x03,0x93,0x07]
// W64-ERR: :[[@LINE-2]]:1: error: instruction requires wavesize=32

v_dual_max_num_f64 v[252:253], v[6:7], v[4:5] :: v_dual_add_f32 v8, v1, v3
// GFX1250: v_dual_max_num_f64 v[252:253], v[6:7], v[4:5] :: v_dual_add_f32 v8, v1, v3 ; encoding: [0x06,0x41,0x8c,0xcf,0x01,0x01,0x04,0x00,0xfc,0x03,0x00,0x08]
// W64-ERR: :[[@LINE-2]]:1: error: instruction requires wavesize=32

v_dual_max_num_f64 v[254:255], v[2:3], v[4:5] :: v_dual_add_f32 v7, v253, v3
// GFX1250: v_dual_max_num_f64 v[254:255], v[2:3], v[4:5] :: v_dual_add_f32 v7, v253, v3 ; encoding: [0x02,0x41,0x8c,0xcf,0xfd,0x01,0x04,0x00,0xfe,0x03,0x00,0x07]
	;; [unrolled: 4-line block ×6, first 2 shown]
// W64-ERR: :[[@LINE-2]]:1: error: instruction requires wavesize=32

v_dual_max_num_f64 v[254:255], ttmp[14:15], v[4:5] :: v_dual_add_f32 v7, vcc_lo, v3
// GFX1250: v_dual_max_num_f64 v[254:255], ttmp[14:15], v[4:5] :: v_dual_add_f32 v7, vcc_lo, v3 ; encoding: [0x7a,0x40,0x8c,0xcf,0x6a,0x00,0x04,0x00,0xfe,0x03,0x00,0x07]
// W64-ERR: :[[@LINE-2]]:1: error: instruction requires wavesize=32

v_dual_max_num_f64 v[254:255], exec, v[4:5] :: v_dual_add_f32 v7, v15, v3
// GFX1250: v_dual_max_num_f64 v[254:255], exec, v[4:5] :: v_dual_add_f32 v7, v15, v3 ; encoding: [0x7e,0x40,0x8c,0xcf,0x0f,0x01,0x04,0x00,0xfe,0x03,0x00,0x07]
// W64-ERR: :[[@LINE-2]]:1: error: instruction requires wavesize=32

v_dual_max_num_f64 v[254:255], vcc, v[4:5] :: v_dual_add_f32 v7, exec_hi, v3
// GFX1250: v_dual_max_num_f64 v[254:255], vcc, v[4:5] :: v_dual_add_f32 v7, exec_hi, v3 ; encoding: [0x6a,0x40,0x8c,0xcf,0x7f,0x00,0x04,0x00,0xfe,0x03,0x00,0x07]
// W64-ERR: :[[@LINE-2]]:1: error: instruction requires wavesize=32

v_dual_max_num_f64 v[254:255], src_scc, v[4:5] :: v_dual_add_f32 v7, -1, v3
// GFX1250: v_dual_max_num_f64 v[254:255], src_scc, v[4:5] :: v_dual_add_f32 v7, -1, v3 ; encoding: [0xfd,0x40,0x8c,0xcf,0xc1,0x00,0x04,0x00,0xfe,0x03,0x00,0x07]
// W64-ERR: :[[@LINE-2]]:1: error: instruction requires wavesize=32

v_dual_max_num_f64 v[254:255], 0.5, v[8:9] :: v_dual_add_f32 v7, 0.5, v2
// GFX1250: v_dual_max_num_f64 v[254:255], 0.5, v[8:9] :: v_dual_add_f32 v7, 0.5, v2 ; encoding: [0xf0,0x40,0x8c,0xcf,0xf0,0x00,0x08,0x00,0xfe,0x02,0x00,0x07]
// W64-ERR: :[[@LINE-2]]:1: error: instruction requires wavesize=32

v_dual_max_num_f64 v[254:255], -1, v[6:7] :: v_dual_add_f32 v7, src_scc, v5
// GFX1250: v_dual_max_num_f64 v[254:255], -1, v[6:7] :: v_dual_add_f32 v7, src_scc, v5 ; encoding: [0xc1,0x40,0x8c,0xcf,0xfd,0x00,0x06,0x00,0xfe,0x05,0x00,0x07]
// W64-ERR: :[[@LINE-2]]:1: error: instruction requires wavesize=32

v_dual_max_num_f64 v[254:255], v[4:5], v[4:5] :: v_dual_add_nc_u32 v7, v2, v3
// GFX1250: v_dual_max_num_f64 v[254:255], v[4:5], v[4:5] :: v_dual_add_nc_u32 v7, v2, v3 ; encoding: [0x04,0x01,0x8d,0xcf,0x02,0x01,0x04,0x00,0xfe,0x03,0x00,0x07]
// W64-ERR: :[[@LINE-2]]:1: error: instruction requires wavesize=32

v_dual_max_num_f64 v[254:255], v[2:3], v[4:5] :: v_dual_add_nc_u32 v7, v253, v3
// GFX1250: v_dual_max_num_f64 v[254:255], v[2:3], v[4:5] :: v_dual_add_nc_u32 v7, v253, v3 ; encoding: [0x02,0x01,0x8d,0xcf,0xfd,0x01,0x04,0x00,0xfe,0x03,0x00,0x07]
	;; [unrolled: 4-line block ×6, first 2 shown]
// W64-ERR: :[[@LINE-2]]:1: error: instruction requires wavesize=32

v_dual_max_num_f64 v[254:255], ttmp[14:15], v[4:5] :: v_dual_add_nc_u32 v7, vcc_lo, v3
// GFX1250: v_dual_max_num_f64 v[254:255], ttmp[14:15], v[4:5] :: v_dual_add_nc_u32 v7, vcc_lo, v3 ; encoding: [0x7a,0x00,0x8d,0xcf,0x6a,0x00,0x04,0x00,0xfe,0x03,0x00,0x07]
// W64-ERR: :[[@LINE-2]]:1: error: instruction requires wavesize=32

v_dual_max_num_f64 v[254:255], exec, v[4:5] :: v_dual_add_nc_u32 v7, v15, v3
// GFX1250: v_dual_max_num_f64 v[254:255], exec, v[4:5] :: v_dual_add_nc_u32 v7, v15, v3 ; encoding: [0x7e,0x00,0x8d,0xcf,0x0f,0x01,0x04,0x00,0xfe,0x03,0x00,0x07]
// W64-ERR: :[[@LINE-2]]:1: error: instruction requires wavesize=32

v_dual_max_num_f64 v[254:255], vcc, v[4:5] :: v_dual_add_nc_u32 v7, exec_hi, v3
// GFX1250: v_dual_max_num_f64 v[254:255], vcc, v[4:5] :: v_dual_add_nc_u32 v7, exec_hi, v3 ; encoding: [0x6a,0x00,0x8d,0xcf,0x7f,0x00,0x04,0x00,0xfe,0x03,0x00,0x07]
// W64-ERR: :[[@LINE-2]]:1: error: instruction requires wavesize=32

v_dual_max_num_f64 v[254:255], src_scc, v[4:5] :: v_dual_add_nc_u32 v7, -1, v3
// GFX1250: v_dual_max_num_f64 v[254:255], src_scc, v[4:5] :: v_dual_add_nc_u32 v7, -1, v3 ; encoding: [0xfd,0x00,0x8d,0xcf,0xc1,0x00,0x04,0x00,0xfe,0x03,0x00,0x07]
// W64-ERR: :[[@LINE-2]]:1: error: instruction requires wavesize=32

v_dual_max_num_f64 v[254:255], 0.5, v[8:9] :: v_dual_add_nc_u32 v7, 0.5, v2
// GFX1250: v_dual_max_num_f64 v[254:255], 0.5, v[8:9] :: v_dual_add_nc_u32 v7, 0.5, v2 ; encoding: [0xf0,0x00,0x8d,0xcf,0xf0,0x00,0x08,0x00,0xfe,0x02,0x00,0x07]
// W64-ERR: :[[@LINE-2]]:1: error: instruction requires wavesize=32

v_dual_max_num_f64 v[254:255], -1, v[6:7] :: v_dual_add_nc_u32 v7, src_scc, v5
// GFX1250: v_dual_max_num_f64 v[254:255], -1, v[6:7] :: v_dual_add_nc_u32 v7, src_scc, v5 ; encoding: [0xc1,0x00,0x8d,0xcf,0xfd,0x00,0x06,0x00,0xfe,0x05,0x00,0x07]
// W64-ERR: :[[@LINE-2]]:1: error: instruction requires wavesize=32

v_dual_max_num_f64 v[254:255], v[4:5], v[4:5] :: v_dual_cndmask_b32 v7, v2, v3, vcc_lo
// GFX1250: v_dual_max_num_f64 v[254:255], v[4:5], v[4:5] :: v_dual_cndmask_b32 v7, v2, v3, vcc_lo ; encoding: [0x04,0x91,0x8c,0xcf,0x02,0x01,0x04,0x00,0xfe,0x03,0x6a,0x07]
// W64-ERR: :[[@LINE-2]]:1: error: instruction requires wavesize=32

v_dual_max_num_f64 v[254:255], v[2:3], v[4:5] :: v_dual_cndmask_b32 v7, v253, v3, vcc_lo
// GFX1250: v_dual_max_num_f64 v[254:255], v[2:3], v[4:5] :: v_dual_cndmask_b32 v7, v253, v3, vcc_lo ; encoding: [0x02,0x91,0x8c,0xcf,0xfd,0x01,0x04,0x00,0xfe,0x03,0x6a,0x07]
	;; [unrolled: 4-line block ×6, first 2 shown]
// W64-ERR: :[[@LINE-2]]:1: error: instruction requires wavesize=32

v_dual_max_num_f64 v[254:255], ttmp[14:15], v[4:5] :: v_dual_cndmask_b32 v7, v15, v3, vcc_lo
// GFX1250: v_dual_max_num_f64 v[254:255], ttmp[14:15], v[4:5] :: v_dual_cndmask_b32 v7, v15, v3, vcc_lo ; encoding: [0x7a,0x90,0x8c,0xcf,0x0f,0x01,0x04,0x00,0xfe,0x03,0x6a,0x07]
// W64-ERR: :[[@LINE-2]]:1: error: instruction requires wavesize=32

v_dual_max_num_f64 v[254:255], exec, v[4:5] :: v_dual_cndmask_b32 v7, v10, v3, vcc_lo
// GFX1250: v_dual_max_num_f64 v[254:255], exec, v[4:5] :: v_dual_cndmask_b32 v7, v10, v3, vcc_lo ; encoding: [0x7e,0x90,0x8c,0xcf,0x0a,0x01,0x04,0x00,0xfe,0x03,0x6a,0x07]
// W64-ERR: :[[@LINE-2]]:1: error: instruction requires wavesize=32

v_dual_max_num_f64 v[254:255], vcc, v[4:5] :: v_dual_cndmask_b32 v7, vcc_lo, v3, vcc_lo
// GFX1250: v_dual_max_num_f64 v[254:255], vcc, v[4:5] :: v_dual_cndmask_b32 v7, vcc_lo, v3, vcc_lo ; encoding: [0x6a,0x90,0x8c,0xcf,0x6a,0x00,0x04,0x00,0xfe,0x03,0x6a,0x07]
// W64-ERR: :[[@LINE-2]]:1: error: instruction requires wavesize=32

v_dual_max_num_f64 v[254:255], src_scc, v[4:5] :: v_dual_cndmask_b32 v7, -1, v3, vcc_lo
// GFX1250: v_dual_max_num_f64 v[254:255], src_scc, v[4:5] :: v_dual_cndmask_b32 v7, -1, v3, vcc_lo ; encoding: [0xfd,0x90,0x8c,0xcf,0xc1,0x00,0x04,0x00,0xfe,0x03,0x6a,0x07]
// W64-ERR: :[[@LINE-2]]:1: error: instruction requires wavesize=32

v_dual_max_num_f64 v[254:255], 0.5, v[8:9] :: v_dual_cndmask_b32 v7, 0.5, v2, vcc_lo
// GFX1250: v_dual_max_num_f64 v[254:255], 0.5, v[8:9] :: v_dual_cndmask_b32 v7, 0.5, v2, vcc_lo ; encoding: [0xf0,0x90,0x8c,0xcf,0xf0,0x00,0x08,0x00,0xfe,0x02,0x6a,0x07]
// W64-ERR: :[[@LINE-2]]:1: error: instruction requires wavesize=32

v_dual_max_num_f64 v[254:255], -1, v[6:7] :: v_dual_cndmask_b32 v7, src_scc, v5, vcc_lo
// GFX1250: v_dual_max_num_f64 v[254:255], -1, v[6:7] :: v_dual_cndmask_b32 v7, src_scc, v5, vcc_lo ; encoding: [0xc1,0x90,0x8c,0xcf,0xfd,0x00,0x06,0x00,0xfe,0x05,0x6a,0x07]
// W64-ERR: :[[@LINE-2]]:1: error: instruction requires wavesize=32

v_dual_max_num_f64 v[254:255], v[4:5], v[4:5] :: v_dual_fmac_f32 v9, v2, v3
// GFX1250: v_dual_max_num_f64 v[254:255], v[4:5], v[4:5] :: v_dual_fmac_f32 v9, v2, v3 ; encoding: [0x04,0x01,0x8c,0xcf,0x02,0x01,0x04,0x00,0xfe,0x03,0x00,0x09]
// W64-ERR: :[[@LINE-2]]:1: error: instruction requires wavesize=32

v_dual_max_num_f64 v[254:255], v[2:3], v[4:5] :: v_dual_fmac_f32 v9, v253, v3
// GFX1250: v_dual_max_num_f64 v[254:255], v[2:3], v[4:5] :: v_dual_fmac_f32 v9, v253, v3 ; encoding: [0x02,0x01,0x8c,0xcf,0xfd,0x01,0x04,0x00,0xfe,0x03,0x00,0x09]
	;; [unrolled: 4-line block ×6, first 2 shown]
// W64-ERR: :[[@LINE-2]]:1: error: instruction requires wavesize=32

v_dual_max_num_f64 v[254:255], ttmp[14:15], v[4:5] :: v_dual_fmac_f32 v9, vcc_lo, v3
// GFX1250: v_dual_max_num_f64 v[254:255], ttmp[14:15], v[4:5] :: v_dual_fmac_f32 v9, vcc_lo, v3 ; encoding: [0x7a,0x00,0x8c,0xcf,0x6a,0x00,0x04,0x00,0xfe,0x03,0x00,0x09]
// W64-ERR: :[[@LINE-2]]:1: error: instruction requires wavesize=32

v_dual_max_num_f64 v[254:255], exec, v[4:5] :: v_dual_fmac_f32 v9, v15, v3
// GFX1250: v_dual_max_num_f64 v[254:255], exec, v[4:5] :: v_dual_fmac_f32 v9, v15, v3 ; encoding: [0x7e,0x00,0x8c,0xcf,0x0f,0x01,0x04,0x00,0xfe,0x03,0x00,0x09]
// W64-ERR: :[[@LINE-2]]:1: error: instruction requires wavesize=32

v_dual_max_num_f64 v[254:255], vcc, v[4:5] :: v_dual_fmac_f32 v9, exec_hi, v3
// GFX1250: v_dual_max_num_f64 v[254:255], vcc, v[4:5] :: v_dual_fmac_f32 v9, exec_hi, v3 ; encoding: [0x6a,0x00,0x8c,0xcf,0x7f,0x00,0x04,0x00,0xfe,0x03,0x00,0x09]
// W64-ERR: :[[@LINE-2]]:1: error: instruction requires wavesize=32

v_dual_max_num_f64 v[254:255], src_scc, v[4:5] :: v_dual_fmac_f32 v9, -1, v3
// GFX1250: v_dual_max_num_f64 v[254:255], src_scc, v[4:5] :: v_dual_fmac_f32 v9, -1, v3 ; encoding: [0xfd,0x00,0x8c,0xcf,0xc1,0x00,0x04,0x00,0xfe,0x03,0x00,0x09]
// W64-ERR: :[[@LINE-2]]:1: error: instruction requires wavesize=32

v_dual_max_num_f64 v[254:255], 0.5, v[8:9] :: v_dual_fmac_f32 v9, 0.5, v2
// GFX1250: v_dual_max_num_f64 v[254:255], 0.5, v[8:9] :: v_dual_fmac_f32 v9, 0.5, v2 ; encoding: [0xf0,0x00,0x8c,0xcf,0xf0,0x00,0x08,0x00,0xfe,0x02,0x00,0x09]
// W64-ERR: :[[@LINE-2]]:1: error: instruction requires wavesize=32

v_dual_max_num_f64 v[254:255], -1, v[6:7] :: v_dual_fmac_f32 v9, src_scc, v5
// GFX1250: v_dual_max_num_f64 v[254:255], -1, v[6:7] :: v_dual_fmac_f32 v9, src_scc, v5 ; encoding: [0xc1,0x00,0x8c,0xcf,0xfd,0x00,0x06,0x00,0xfe,0x05,0x00,0x09]
// W64-ERR: :[[@LINE-2]]:1: error: instruction requires wavesize=32

v_dual_max_num_f64 v[254:255], v[4:5], v[4:5] :: v_dual_lshlrev_b32 v7, v2, v3
// GFX1250: v_dual_max_num_f64 v[254:255], v[4:5], v[4:5] :: v_dual_lshlrev_b32 v7, v2, v3 ; encoding: [0x04,0x11,0x8d,0xcf,0x02,0x01,0x04,0x00,0xfe,0x03,0x00,0x07]
// W64-ERR: :[[@LINE-2]]:1: error: instruction requires wavesize=32

v_dual_max_num_f64 v[254:255], v[2:3], v[4:5] :: v_dual_lshlrev_b32 v7, v253, v3
// GFX1250: v_dual_max_num_f64 v[254:255], v[2:3], v[4:5] :: v_dual_lshlrev_b32 v7, v253, v3 ; encoding: [0x02,0x11,0x8d,0xcf,0xfd,0x01,0x04,0x00,0xfe,0x03,0x00,0x07]
	;; [unrolled: 4-line block ×6, first 2 shown]
// W64-ERR: :[[@LINE-2]]:1: error: instruction requires wavesize=32

v_dual_max_num_f64 v[254:255], ttmp[14:15], v[4:5] :: v_dual_lshlrev_b32 v7, vcc_lo, v3
// GFX1250: v_dual_max_num_f64 v[254:255], ttmp[14:15], v[4:5] :: v_dual_lshlrev_b32 v7, vcc_lo, v3 ; encoding: [0x7a,0x10,0x8d,0xcf,0x6a,0x00,0x04,0x00,0xfe,0x03,0x00,0x07]
// W64-ERR: :[[@LINE-2]]:1: error: instruction requires wavesize=32

v_dual_max_num_f64 v[254:255], exec, v[4:5] :: v_dual_lshlrev_b32 v7, v15, v3
// GFX1250: v_dual_max_num_f64 v[254:255], exec, v[4:5] :: v_dual_lshlrev_b32 v7, v15, v3 ; encoding: [0x7e,0x10,0x8d,0xcf,0x0f,0x01,0x04,0x00,0xfe,0x03,0x00,0x07]
// W64-ERR: :[[@LINE-2]]:1: error: instruction requires wavesize=32

v_dual_max_num_f64 v[254:255], vcc, v[4:5] :: v_dual_lshlrev_b32 v7, exec_hi, v3
// GFX1250: v_dual_max_num_f64 v[254:255], vcc, v[4:5] :: v_dual_lshlrev_b32 v7, exec_hi, v3 ; encoding: [0x6a,0x10,0x8d,0xcf,0x7f,0x00,0x04,0x00,0xfe,0x03,0x00,0x07]
// W64-ERR: :[[@LINE-2]]:1: error: instruction requires wavesize=32

v_dual_max_num_f64 v[254:255], src_scc, v[4:5] :: v_dual_lshlrev_b32 v7, -1, v3
// GFX1250: v_dual_max_num_f64 v[254:255], src_scc, v[4:5] :: v_dual_lshlrev_b32 v7, -1, v3 ; encoding: [0xfd,0x10,0x8d,0xcf,0xc1,0x00,0x04,0x00,0xfe,0x03,0x00,0x07]
// W64-ERR: :[[@LINE-2]]:1: error: instruction requires wavesize=32

v_dual_max_num_f64 v[254:255], 0.5, v[8:9] :: v_dual_lshlrev_b32 v7, 0.5, v2
// GFX1250: v_dual_max_num_f64 v[254:255], 0.5, v[8:9] :: v_dual_lshlrev_b32 v7, 0.5, v2 ; encoding: [0xf0,0x10,0x8d,0xcf,0xf0,0x00,0x08,0x00,0xfe,0x02,0x00,0x07]
// W64-ERR: :[[@LINE-2]]:1: error: instruction requires wavesize=32

v_dual_max_num_f64 v[254:255], -1, v[6:7] :: v_dual_lshlrev_b32 v7, src_scc, v5
// GFX1250: v_dual_max_num_f64 v[254:255], -1, v[6:7] :: v_dual_lshlrev_b32 v7, src_scc, v5 ; encoding: [0xc1,0x10,0x8d,0xcf,0xfd,0x00,0x06,0x00,0xfe,0x05,0x00,0x07]
// W64-ERR: :[[@LINE-2]]:1: error: instruction requires wavesize=32

v_dual_max_num_f64 v[254:255], v[4:5], v[4:5] :: v_dual_max_num_f32 v7, v2, v3
// GFX1250: v_dual_max_num_f64 v[254:255], v[4:5], v[4:5] :: v_dual_max_num_f32 v7, v2, v3 ; encoding: [0x04,0xa1,0x8c,0xcf,0x02,0x01,0x04,0x00,0xfe,0x03,0x00,0x07]
// W64-ERR: :[[@LINE-2]]:1: error: instruction requires wavesize=32

v_dual_max_num_f64 v[254:255], v[2:3], v[4:5] :: v_dual_max_num_f32 v7, v253, v3
// GFX1250: v_dual_max_num_f64 v[254:255], v[2:3], v[4:5] :: v_dual_max_num_f32 v7, v253, v3 ; encoding: [0x02,0xa1,0x8c,0xcf,0xfd,0x01,0x04,0x00,0xfe,0x03,0x00,0x07]
	;; [unrolled: 4-line block ×6, first 2 shown]
// W64-ERR: :[[@LINE-2]]:1: error: instruction requires wavesize=32

v_dual_max_num_f64 v[254:255], ttmp[14:15], v[4:5] :: v_dual_max_num_f32 v7, vcc_lo, v3
// GFX1250: v_dual_max_num_f64 v[254:255], ttmp[14:15], v[4:5] :: v_dual_max_num_f32 v7, vcc_lo, v3 ; encoding: [0x7a,0xa0,0x8c,0xcf,0x6a,0x00,0x04,0x00,0xfe,0x03,0x00,0x07]
// W64-ERR: :[[@LINE-2]]:1: error: instruction requires wavesize=32

v_dual_max_num_f64 v[254:255], exec, v[4:5] :: v_dual_max_num_f32 v7, v15, v3
// GFX1250: v_dual_max_num_f64 v[254:255], exec, v[4:5] :: v_dual_max_num_f32 v7, v15, v3 ; encoding: [0x7e,0xa0,0x8c,0xcf,0x0f,0x01,0x04,0x00,0xfe,0x03,0x00,0x07]
// W64-ERR: :[[@LINE-2]]:1: error: instruction requires wavesize=32

v_dual_max_num_f64 v[254:255], vcc, v[4:5] :: v_dual_max_num_f32 v7, exec_hi, v3
// GFX1250: v_dual_max_num_f64 v[254:255], vcc, v[4:5] :: v_dual_max_num_f32 v7, exec_hi, v3 ; encoding: [0x6a,0xa0,0x8c,0xcf,0x7f,0x00,0x04,0x00,0xfe,0x03,0x00,0x07]
// W64-ERR: :[[@LINE-2]]:1: error: instruction requires wavesize=32

v_dual_max_num_f64 v[254:255], src_scc, v[4:5] :: v_dual_max_num_f32 v7, -1, v3
// GFX1250: v_dual_max_num_f64 v[254:255], src_scc, v[4:5] :: v_dual_max_num_f32 v7, -1, v3 ; encoding: [0xfd,0xa0,0x8c,0xcf,0xc1,0x00,0x04,0x00,0xfe,0x03,0x00,0x07]
// W64-ERR: :[[@LINE-2]]:1: error: instruction requires wavesize=32

v_dual_max_num_f64 v[254:255], 0.5, v[8:9] :: v_dual_max_num_f32 v7, 0.5, v2
// GFX1250: v_dual_max_num_f64 v[254:255], 0.5, v[8:9] :: v_dual_max_num_f32 v7, 0.5, v2 ; encoding: [0xf0,0xa0,0x8c,0xcf,0xf0,0x00,0x08,0x00,0xfe,0x02,0x00,0x07]
// W64-ERR: :[[@LINE-2]]:1: error: instruction requires wavesize=32

v_dual_max_num_f64 v[254:255], -1, v[6:7] :: v_dual_max_num_f32 v7, src_scc, v5
// GFX1250: v_dual_max_num_f64 v[254:255], -1, v[6:7] :: v_dual_max_num_f32 v7, src_scc, v5 ; encoding: [0xc1,0xa0,0x8c,0xcf,0xfd,0x00,0x06,0x00,0xfe,0x05,0x00,0x07]
// W64-ERR: :[[@LINE-2]]:1: error: instruction requires wavesize=32

v_dual_max_num_f64 v[254:255], v[4:5], v[4:5] :: v_dual_min_num_f32 v7, v2, v3
// GFX1250: v_dual_max_num_f64 v[254:255], v[4:5], v[4:5] :: v_dual_min_num_f32 v7, v2, v3 ; encoding: [0x04,0xb1,0x8c,0xcf,0x02,0x01,0x04,0x00,0xfe,0x03,0x00,0x07]
// W64-ERR: :[[@LINE-2]]:1: error: instruction requires wavesize=32

v_dual_max_num_f64 v[254:255], v[2:3], v[4:5] :: v_dual_min_num_f32 v7, v253, v3
// GFX1250: v_dual_max_num_f64 v[254:255], v[2:3], v[4:5] :: v_dual_min_num_f32 v7, v253, v3 ; encoding: [0x02,0xb1,0x8c,0xcf,0xfd,0x01,0x04,0x00,0xfe,0x03,0x00,0x07]
	;; [unrolled: 4-line block ×6, first 2 shown]
// W64-ERR: :[[@LINE-2]]:1: error: instruction requires wavesize=32

v_dual_max_num_f64 v[254:255], ttmp[14:15], v[4:5] :: v_dual_min_num_f32 v7, vcc_lo, v3
// GFX1250: v_dual_max_num_f64 v[254:255], ttmp[14:15], v[4:5] :: v_dual_min_num_f32 v7, vcc_lo, v3 ; encoding: [0x7a,0xb0,0x8c,0xcf,0x6a,0x00,0x04,0x00,0xfe,0x03,0x00,0x07]
// W64-ERR: :[[@LINE-2]]:1: error: instruction requires wavesize=32

v_dual_max_num_f64 v[254:255], exec, v[4:5] :: v_dual_min_num_f32 v7, v15, v3
// GFX1250: v_dual_max_num_f64 v[254:255], exec, v[4:5] :: v_dual_min_num_f32 v7, v15, v3 ; encoding: [0x7e,0xb0,0x8c,0xcf,0x0f,0x01,0x04,0x00,0xfe,0x03,0x00,0x07]
// W64-ERR: :[[@LINE-2]]:1: error: instruction requires wavesize=32

v_dual_max_num_f64 v[254:255], vcc, v[4:5] :: v_dual_min_num_f32 v7, exec_hi, v3
// GFX1250: v_dual_max_num_f64 v[254:255], vcc, v[4:5] :: v_dual_min_num_f32 v7, exec_hi, v3 ; encoding: [0x6a,0xb0,0x8c,0xcf,0x7f,0x00,0x04,0x00,0xfe,0x03,0x00,0x07]
// W64-ERR: :[[@LINE-2]]:1: error: instruction requires wavesize=32

v_dual_max_num_f64 v[254:255], src_scc, v[4:5] :: v_dual_min_num_f32 v7, -1, v3
// GFX1250: v_dual_max_num_f64 v[254:255], src_scc, v[4:5] :: v_dual_min_num_f32 v7, -1, v3 ; encoding: [0xfd,0xb0,0x8c,0xcf,0xc1,0x00,0x04,0x00,0xfe,0x03,0x00,0x07]
// W64-ERR: :[[@LINE-2]]:1: error: instruction requires wavesize=32

v_dual_max_num_f64 v[254:255], 0.5, v[8:9] :: v_dual_min_num_f32 v7, 0.5, v2
// GFX1250: v_dual_max_num_f64 v[254:255], 0.5, v[8:9] :: v_dual_min_num_f32 v7, 0.5, v2 ; encoding: [0xf0,0xb0,0x8c,0xcf,0xf0,0x00,0x08,0x00,0xfe,0x02,0x00,0x07]
// W64-ERR: :[[@LINE-2]]:1: error: instruction requires wavesize=32

v_dual_max_num_f64 v[254:255], -1, v[6:7] :: v_dual_min_num_f32 v7, src_scc, v5
// GFX1250: v_dual_max_num_f64 v[254:255], -1, v[6:7] :: v_dual_min_num_f32 v7, src_scc, v5 ; encoding: [0xc1,0xb0,0x8c,0xcf,0xfd,0x00,0x06,0x00,0xfe,0x05,0x00,0x07]
// W64-ERR: :[[@LINE-2]]:1: error: instruction requires wavesize=32

v_dual_max_num_f64 v[254:255], v[4:5], v[254:255] :: v_dual_mov_b32 v7, v3
// GFX1250: v_dual_max_num_f64 v[254:255], v[4:5], v[254:255] :: v_dual_mov_b32 v7, v3 ; encoding: [0x04,0x81,0x8c,0xcf,0x03,0x01,0xfe,0x00,0xfe,0x00,0x00,0x07]
// W64-ERR: :[[@LINE-2]]:1: error: instruction requires wavesize=32

v_dual_max_num_f64 v[254:255], v[2:3], v[254:255] :: v_dual_mov_b32 v7, v253
// GFX1250: v_dual_max_num_f64 v[254:255], v[2:3], v[254:255] :: v_dual_mov_b32 v7, v253 ; encoding: [0x02,0x81,0x8c,0xcf,0xfd,0x01,0xfe,0x00,0xfe,0x00,0x00,0x07]
// W64-ERR: :[[@LINE-2]]:1: error: instruction requires wavesize=32

v_dual_max_num_f64 v[254:255], v[254:255], v[254:255] :: v_dual_mov_b32 v7, v4
// GFX1250: v_dual_max_num_f64 v[254:255], v[254:255], v[254:255] :: v_dual_mov_b32 v7, v4 ; encoding: [0xfe,0x81,0x8c,0xcf,0x04,0x01,0xfe,0x00,0xfe,0x00,0x00,0x07]
// W64-ERR: :[[@LINE-2]]:1: error: instruction requires wavesize=32

v_dual_max_num_f64 v[254:255], v[4:5], v[254:255] :: v_dual_mov_b32 v7, v3
// GFX1250: v_dual_max_num_f64 v[254:255], v[4:5], v[254:255] :: v_dual_mov_b32 v7, v3 ; encoding: [0x04,0x81,0x8c,0xcf,0x03,0x01,0xfe,0x00,0xfe,0x00,0x00,0x07]
// W64-ERR: :[[@LINE-2]]:1: error: instruction requires wavesize=32

v_dual_max_num_f64 v[254:255], v[6:7], v[254:255] :: v_dual_mov_b32 v7, v4
// GFX1250: v_dual_max_num_f64 v[254:255], v[6:7], v[254:255] :: v_dual_mov_b32 v7, v4 ; encoding: [0x06,0x81,0x8c,0xcf,0x04,0x01,0xfe,0x00,0xfe,0x00,0x00,0x07]
// W64-ERR: :[[@LINE-2]]:1: error: instruction requires wavesize=32

v_dual_max_num_f64 v[254:255], s[104:105], v[254:255] :: v_dual_mov_b32 v7, s1
// GFX1250: v_dual_max_num_f64 v[254:255], s[104:105], v[254:255] :: v_dual_mov_b32 v7, s1 ; encoding: [0x68,0x80,0x8c,0xcf,0x01,0x00,0xfe,0x00,0xfe,0x00,0x00,0x07]
// W64-ERR: :[[@LINE-2]]:1: error: instruction requires wavesize=32

v_dual_max_num_f64 v[254:255], s[2:3], v[254:255] :: v_dual_mov_b32 v7, s105
// GFX1250: v_dual_max_num_f64 v[254:255], s[2:3], v[254:255] :: v_dual_mov_b32 v7, s105 ; encoding: [0x02,0x80,0x8c,0xcf,0x69,0x00,0xfe,0x00,0xfe,0x00,0x00,0x07]
// W64-ERR: :[[@LINE-2]]:1: error: instruction requires wavesize=32

v_dual_max_num_f64 v[254:255], ttmp[14:15], v[254:255] :: v_dual_mov_b32 v7, vcc_lo
// GFX1250: v_dual_max_num_f64 v[254:255], ttmp[14:15], v[254:255] :: v_dual_mov_b32 v7, vcc_lo ; encoding: [0x7a,0x80,0x8c,0xcf,0x6a,0x00,0xfe,0x00,0xfe,0x00,0x00,0x07]
// W64-ERR: :[[@LINE-2]]:1: error: instruction requires wavesize=32

v_dual_max_num_f64 v[254:255], exec, v[254:255] :: v_dual_mov_b32 v7, ttmp15
// GFX1250: v_dual_max_num_f64 v[254:255], exec, v[254:255] :: v_dual_mov_b32 v7, ttmp15 ; encoding: [0x7e,0x80,0x8c,0xcf,0x7b,0x00,0xfe,0x00,0xfe,0x00,0x00,0x07]
// W64-ERR: :[[@LINE-2]]:1: error: instruction requires wavesize=32

v_dual_max_num_f64 v[254:255], vcc, v[254:255] :: v_dual_mov_b32 v7, exec_hi
// GFX1250: v_dual_max_num_f64 v[254:255], vcc, v[254:255] :: v_dual_mov_b32 v7, exec_hi ; encoding: [0x6a,0x80,0x8c,0xcf,0x7f,0x00,0xfe,0x00,0xfe,0x00,0x00,0x07]
// W64-ERR: :[[@LINE-2]]:1: error: instruction requires wavesize=32

v_dual_max_num_f64 v[254:255], src_scc, v[254:255] :: v_dual_mov_b32 v7, -1
// GFX1250: v_dual_max_num_f64 v[254:255], src_scc, v[254:255] :: v_dual_mov_b32 v7, -1 ; encoding: [0xfd,0x80,0x8c,0xcf,0xc1,0x00,0xfe,0x00,0xfe,0x00,0x00,0x07]
// W64-ERR: :[[@LINE-2]]:1: error: instruction requires wavesize=32

v_dual_max_num_f64 v[254:255], 0.5, v[8:9] :: v_dual_mov_b32 v7, 0.5
// GFX1250: v_dual_max_num_f64 v[254:255], 0.5, v[8:9] :: v_dual_mov_b32 v7, 0.5 ; encoding: [0xf0,0x80,0x8c,0xcf,0xf0,0x00,0x08,0x00,0xfe,0x00,0x00,0x07]
// W64-ERR: :[[@LINE-2]]:1: error: instruction requires wavesize=32

v_dual_max_num_f64 v[254:255], -1, v[6:7] :: v_dual_mov_b32 v7, src_scc
// GFX1250: v_dual_max_num_f64 v[254:255], -1, v[6:7] :: v_dual_mov_b32 v7, src_scc ; encoding: [0xc1,0x80,0x8c,0xcf,0xfd,0x00,0x06,0x00,0xfe,0x00,0x00,0x07]
// W64-ERR: :[[@LINE-2]]:1: error: instruction requires wavesize=32

v_dual_max_num_f64 v[254:255], v[4:5], v[4:5] :: v_dual_mul_dx9_zero_f32 v7, v2, v3
// GFX1250: v_dual_max_num_f64 v[254:255], v[4:5], v[4:5] :: v_dual_mul_dx9_zero_f32 v7, v2, v3 ; encoding: [0x04,0x71,0x8c,0xcf,0x02,0x01,0x04,0x00,0xfe,0x03,0x00,0x07]
// W64-ERR: :[[@LINE-2]]:1: error: instruction requires wavesize=32

v_dual_max_num_f64 v[254:255], v[2:3], v[4:5] :: v_dual_mul_dx9_zero_f32 v7, v253, v3
// GFX1250: v_dual_max_num_f64 v[254:255], v[2:3], v[4:5] :: v_dual_mul_dx9_zero_f32 v7, v253, v3 ; encoding: [0x02,0x71,0x8c,0xcf,0xfd,0x01,0x04,0x00,0xfe,0x03,0x00,0x07]
	;; [unrolled: 4-line block ×6, first 2 shown]
// W64-ERR: :[[@LINE-2]]:1: error: instruction requires wavesize=32

v_dual_max_num_f64 v[254:255], ttmp[14:15], v[4:5] :: v_dual_mul_dx9_zero_f32 v7, vcc_lo, v3
// GFX1250: v_dual_max_num_f64 v[254:255], ttmp[14:15], v[4:5] :: v_dual_mul_dx9_zero_f32 v7, vcc_lo, v3 ; encoding: [0x7a,0x70,0x8c,0xcf,0x6a,0x00,0x04,0x00,0xfe,0x03,0x00,0x07]
// W64-ERR: :[[@LINE-2]]:1: error: instruction requires wavesize=32

v_dual_max_num_f64 v[254:255], exec, v[4:5] :: v_dual_mul_dx9_zero_f32 v7, v15, v3
// GFX1250: v_dual_max_num_f64 v[254:255], exec, v[4:5] :: v_dual_mul_dx9_zero_f32 v7, v15, v3 ; encoding: [0x7e,0x70,0x8c,0xcf,0x0f,0x01,0x04,0x00,0xfe,0x03,0x00,0x07]
// W64-ERR: :[[@LINE-2]]:1: error: instruction requires wavesize=32

v_dual_max_num_f64 v[254:255], vcc, v[4:5] :: v_dual_mul_dx9_zero_f32 v7, exec_hi, v3
// GFX1250: v_dual_max_num_f64 v[254:255], vcc, v[4:5] :: v_dual_mul_dx9_zero_f32 v7, exec_hi, v3 ; encoding: [0x6a,0x70,0x8c,0xcf,0x7f,0x00,0x04,0x00,0xfe,0x03,0x00,0x07]
// W64-ERR: :[[@LINE-2]]:1: error: instruction requires wavesize=32

v_dual_max_num_f64 v[254:255], src_scc, v[4:5] :: v_dual_mul_dx9_zero_f32 v7, -1, v3
// GFX1250: v_dual_max_num_f64 v[254:255], src_scc, v[4:5] :: v_dual_mul_dx9_zero_f32 v7, -1, v3 ; encoding: [0xfd,0x70,0x8c,0xcf,0xc1,0x00,0x04,0x00,0xfe,0x03,0x00,0x07]
// W64-ERR: :[[@LINE-2]]:1: error: instruction requires wavesize=32

v_dual_max_num_f64 v[254:255], 0.5, v[8:9] :: v_dual_mul_dx9_zero_f32 v7, 0.5, v2
// GFX1250: v_dual_max_num_f64 v[254:255], 0.5, v[8:9] :: v_dual_mul_dx9_zero_f32 v7, 0.5, v2 ; encoding: [0xf0,0x70,0x8c,0xcf,0xf0,0x00,0x08,0x00,0xfe,0x02,0x00,0x07]
// W64-ERR: :[[@LINE-2]]:1: error: instruction requires wavesize=32

v_dual_max_num_f64 v[254:255], -1, v[6:7] :: v_dual_mul_dx9_zero_f32 v7, src_scc, v5
// GFX1250: v_dual_max_num_f64 v[254:255], -1, v[6:7] :: v_dual_mul_dx9_zero_f32 v7, src_scc, v5 ; encoding: [0xc1,0x70,0x8c,0xcf,0xfd,0x00,0x06,0x00,0xfe,0x05,0x00,0x07]
// W64-ERR: :[[@LINE-2]]:1: error: instruction requires wavesize=32

v_dual_max_num_f64 v[254:255], v[4:5], v[4:5] :: v_dual_mul_f32 v7, v2, v3
// GFX1250: v_dual_max_num_f64 v[254:255], v[4:5], v[4:5] :: v_dual_mul_f32 v7, v2, v3 ; encoding: [0x04,0x31,0x8c,0xcf,0x02,0x01,0x04,0x00,0xfe,0x03,0x00,0x07]
// W64-ERR: :[[@LINE-2]]:1: error: instruction requires wavesize=32

v_dual_max_num_f64 v[254:255], v[2:3], v[4:5] :: v_dual_mul_f32 v7, v253, v3
// GFX1250: v_dual_max_num_f64 v[254:255], v[2:3], v[4:5] :: v_dual_mul_f32 v7, v253, v3 ; encoding: [0x02,0x31,0x8c,0xcf,0xfd,0x01,0x04,0x00,0xfe,0x03,0x00,0x07]
	;; [unrolled: 4-line block ×6, first 2 shown]
// W64-ERR: :[[@LINE-2]]:1: error: instruction requires wavesize=32

v_dual_max_num_f64 v[254:255], ttmp[14:15], v[4:5] :: v_dual_mul_f32 v7, vcc_lo, v3
// GFX1250: v_dual_max_num_f64 v[254:255], ttmp[14:15], v[4:5] :: v_dual_mul_f32 v7, vcc_lo, v3 ; encoding: [0x7a,0x30,0x8c,0xcf,0x6a,0x00,0x04,0x00,0xfe,0x03,0x00,0x07]
// W64-ERR: :[[@LINE-2]]:1: error: instruction requires wavesize=32

v_dual_max_num_f64 v[254:255], exec, v[4:5] :: v_dual_mul_f32 v7, v15, v3
// GFX1250: v_dual_max_num_f64 v[254:255], exec, v[4:5] :: v_dual_mul_f32 v7, v15, v3 ; encoding: [0x7e,0x30,0x8c,0xcf,0x0f,0x01,0x04,0x00,0xfe,0x03,0x00,0x07]
// W64-ERR: :[[@LINE-2]]:1: error: instruction requires wavesize=32

v_dual_max_num_f64 v[254:255], vcc, v[4:5] :: v_dual_mul_f32 v7, exec_hi, v3
// GFX1250: v_dual_max_num_f64 v[254:255], vcc, v[4:5] :: v_dual_mul_f32 v7, exec_hi, v3 ; encoding: [0x6a,0x30,0x8c,0xcf,0x7f,0x00,0x04,0x00,0xfe,0x03,0x00,0x07]
// W64-ERR: :[[@LINE-2]]:1: error: instruction requires wavesize=32

v_dual_max_num_f64 v[254:255], src_scc, v[4:5] :: v_dual_mul_f32 v7, -1, v3
// GFX1250: v_dual_max_num_f64 v[254:255], src_scc, v[4:5] :: v_dual_mul_f32 v7, -1, v3 ; encoding: [0xfd,0x30,0x8c,0xcf,0xc1,0x00,0x04,0x00,0xfe,0x03,0x00,0x07]
// W64-ERR: :[[@LINE-2]]:1: error: instruction requires wavesize=32

v_dual_max_num_f64 v[254:255], 0.5, v[8:9] :: v_dual_mul_f32 v7, 0.5, v2
// GFX1250: v_dual_max_num_f64 v[254:255], 0.5, v[8:9] :: v_dual_mul_f32 v7, 0.5, v2 ; encoding: [0xf0,0x30,0x8c,0xcf,0xf0,0x00,0x08,0x00,0xfe,0x02,0x00,0x07]
// W64-ERR: :[[@LINE-2]]:1: error: instruction requires wavesize=32

v_dual_max_num_f64 v[254:255], -1, v[6:7] :: v_dual_mul_f32 v7, src_scc, v5
// GFX1250: v_dual_max_num_f64 v[254:255], -1, v[6:7] :: v_dual_mul_f32 v7, src_scc, v5 ; encoding: [0xc1,0x30,0x8c,0xcf,0xfd,0x00,0x06,0x00,0xfe,0x05,0x00,0x07]
// W64-ERR: :[[@LINE-2]]:1: error: instruction requires wavesize=32

v_dual_max_num_f64 v[254:255], v[4:5], v[4:5] :: v_dual_sub_f32 v7, v2, v3
// GFX1250: v_dual_max_num_f64 v[254:255], v[4:5], v[4:5] :: v_dual_sub_f32 v7, v2, v3 ; encoding: [0x04,0x51,0x8c,0xcf,0x02,0x01,0x04,0x00,0xfe,0x03,0x00,0x07]
// W64-ERR: :[[@LINE-2]]:1: error: instruction requires wavesize=32

v_dual_max_num_f64 v[254:255], v[2:3], v[4:5] :: v_dual_sub_f32 v7, v253, v3
// GFX1250: v_dual_max_num_f64 v[254:255], v[2:3], v[4:5] :: v_dual_sub_f32 v7, v253, v3 ; encoding: [0x02,0x51,0x8c,0xcf,0xfd,0x01,0x04,0x00,0xfe,0x03,0x00,0x07]
// W64-ERR: :[[@LINE-2]]:1: error: instruction requires wavesize=32

v_dual_max_num_f64 v[254:255], v[254:255], v[4:5] :: v_dual_sub_f32 v7, v5, v3
// GFX1250: v_dual_max_num_f64 v[254:255], v[254:255], v[4:5] :: v_dual_sub_f32 v7, v5, v3 ; encoding: [0xfe,0x51,0x8c,0xcf,0x05,0x01,0x04,0x00,0xfe,0x03,0x00,0x07]
// W64-ERR: :[[@LINE-2]]:1: error: instruction requires wavesize=32

v_dual_max_num_f64 v[254:255], v[4:5], v[4:5] :: v_dual_sub_f32 v7, v3, v3
// GFX1250: v_dual_max_num_f64 v[254:255], v[4:5], v[4:5] :: v_dual_sub_f32 v7, v3, v3 ; encoding: [0x04,0x51,0x8c,0xcf,0x03,0x01,0x04,0x00,0xfe,0x03,0x00,0x07]
// W64-ERR: :[[@LINE-2]]:1: error: instruction requires wavesize=32

v_dual_max_num_f64 v[254:255], v[6:7], v[4:5] :: v_dual_sub_f32 v7, v4, v3
// GFX1250: v_dual_max_num_f64 v[254:255], v[6:7], v[4:5] :: v_dual_sub_f32 v7, v4, v3 ; encoding: [0x06,0x51,0x8c,0xcf,0x04,0x01,0x04,0x00,0xfe,0x03,0x00,0x07]
// W64-ERR: :[[@LINE-2]]:1: error: instruction requires wavesize=32

v_dual_max_num_f64 v[254:255], s[104:105], v[4:5] :: v_dual_sub_f32 v7, v1, v3
// GFX1250: v_dual_max_num_f64 v[254:255], s[104:105], v[4:5] :: v_dual_sub_f32 v7, v1, v3 ; encoding: [0x68,0x50,0x8c,0xcf,0x01,0x01,0x04,0x00,0xfe,0x03,0x00,0x07]
// W64-ERR: :[[@LINE-2]]:1: error: instruction requires wavesize=32

v_dual_max_num_f64 v[254:255], ttmp[14:15], v[4:5] :: v_dual_sub_f32 v7, vcc_lo, v3
// GFX1250: v_dual_max_num_f64 v[254:255], ttmp[14:15], v[4:5] :: v_dual_sub_f32 v7, vcc_lo, v3 ; encoding: [0x7a,0x50,0x8c,0xcf,0x6a,0x00,0x04,0x00,0xfe,0x03,0x00,0x07]
// W64-ERR: :[[@LINE-2]]:1: error: instruction requires wavesize=32

v_dual_max_num_f64 v[254:255], exec, v[4:5] :: v_dual_sub_f32 v7, v15, v3
// GFX1250: v_dual_max_num_f64 v[254:255], exec, v[4:5] :: v_dual_sub_f32 v7, v15, v3 ; encoding: [0x7e,0x50,0x8c,0xcf,0x0f,0x01,0x04,0x00,0xfe,0x03,0x00,0x07]
// W64-ERR: :[[@LINE-2]]:1: error: instruction requires wavesize=32

v_dual_max_num_f64 v[254:255], vcc, v[4:5] :: v_dual_sub_f32 v7, exec_hi, v3
// GFX1250: v_dual_max_num_f64 v[254:255], vcc, v[4:5] :: v_dual_sub_f32 v7, exec_hi, v3 ; encoding: [0x6a,0x50,0x8c,0xcf,0x7f,0x00,0x04,0x00,0xfe,0x03,0x00,0x07]
// W64-ERR: :[[@LINE-2]]:1: error: instruction requires wavesize=32

v_dual_max_num_f64 v[254:255], src_scc, v[4:5] :: v_dual_sub_f32 v7, -1, v3
// GFX1250: v_dual_max_num_f64 v[254:255], src_scc, v[4:5] :: v_dual_sub_f32 v7, -1, v3 ; encoding: [0xfd,0x50,0x8c,0xcf,0xc1,0x00,0x04,0x00,0xfe,0x03,0x00,0x07]
// W64-ERR: :[[@LINE-2]]:1: error: instruction requires wavesize=32

v_dual_max_num_f64 v[254:255], 0.5, v[8:9] :: v_dual_sub_f32 v7, 0.5, v2
// GFX1250: v_dual_max_num_f64 v[254:255], 0.5, v[8:9] :: v_dual_sub_f32 v7, 0.5, v2 ; encoding: [0xf0,0x50,0x8c,0xcf,0xf0,0x00,0x08,0x00,0xfe,0x02,0x00,0x07]
// W64-ERR: :[[@LINE-2]]:1: error: instruction requires wavesize=32

v_dual_max_num_f64 v[254:255], -1, v[6:7] :: v_dual_sub_f32 v7, src_scc, v5
// GFX1250: v_dual_max_num_f64 v[254:255], -1, v[6:7] :: v_dual_sub_f32 v7, src_scc, v5 ; encoding: [0xc1,0x50,0x8c,0xcf,0xfd,0x00,0x06,0x00,0xfe,0x05,0x00,0x07]
// W64-ERR: :[[@LINE-2]]:1: error: instruction requires wavesize=32

v_dual_max_num_f64 v[254:255], v[4:5], v[4:5] :: v_dual_subrev_f32 v7, v2, v3
// GFX1250: v_dual_max_num_f64 v[254:255], v[4:5], v[4:5] :: v_dual_subrev_f32 v7, v2, v3 ; encoding: [0x04,0x61,0x8c,0xcf,0x02,0x01,0x04,0x00,0xfe,0x03,0x00,0x07]
// W64-ERR: :[[@LINE-2]]:1: error: instruction requires wavesize=32

v_dual_max_num_f64 v[254:255], v[2:3], v[4:5] :: v_dual_subrev_f32 v7, v253, v3
// GFX1250: v_dual_max_num_f64 v[254:255], v[2:3], v[4:5] :: v_dual_subrev_f32 v7, v253, v3 ; encoding: [0x02,0x61,0x8c,0xcf,0xfd,0x01,0x04,0x00,0xfe,0x03,0x00,0x07]
	;; [unrolled: 4-line block ×6, first 2 shown]
// W64-ERR: :[[@LINE-2]]:1: error: instruction requires wavesize=32

v_dual_max_num_f64 v[254:255], ttmp[14:15], v[4:5] :: v_dual_subrev_f32 v7, vcc_lo, v3
// GFX1250: v_dual_max_num_f64 v[254:255], ttmp[14:15], v[4:5] :: v_dual_subrev_f32 v7, vcc_lo, v3 ; encoding: [0x7a,0x60,0x8c,0xcf,0x6a,0x00,0x04,0x00,0xfe,0x03,0x00,0x07]
// W64-ERR: :[[@LINE-2]]:1: error: instruction requires wavesize=32

v_dual_max_num_f64 v[254:255], exec, v[4:5] :: v_dual_subrev_f32 v7, v15, v3
// GFX1250: v_dual_max_num_f64 v[254:255], exec, v[4:5] :: v_dual_subrev_f32 v7, v15, v3 ; encoding: [0x7e,0x60,0x8c,0xcf,0x0f,0x01,0x04,0x00,0xfe,0x03,0x00,0x07]
// W64-ERR: :[[@LINE-2]]:1: error: instruction requires wavesize=32

v_dual_max_num_f64 v[254:255], vcc, v[4:5] :: v_dual_subrev_f32 v7, exec_hi, v3
// GFX1250: v_dual_max_num_f64 v[254:255], vcc, v[4:5] :: v_dual_subrev_f32 v7, exec_hi, v3 ; encoding: [0x6a,0x60,0x8c,0xcf,0x7f,0x00,0x04,0x00,0xfe,0x03,0x00,0x07]
// W64-ERR: :[[@LINE-2]]:1: error: instruction requires wavesize=32

v_dual_max_num_f64 v[254:255], src_scc, v[4:5] :: v_dual_subrev_f32 v7, -1, v3
// GFX1250: v_dual_max_num_f64 v[254:255], src_scc, v[4:5] :: v_dual_subrev_f32 v7, -1, v3 ; encoding: [0xfd,0x60,0x8c,0xcf,0xc1,0x00,0x04,0x00,0xfe,0x03,0x00,0x07]
// W64-ERR: :[[@LINE-2]]:1: error: instruction requires wavesize=32

v_dual_max_num_f64 v[254:255], 0.5, v[8:9] :: v_dual_subrev_f32 v7, 0.5, v2
// GFX1250: v_dual_max_num_f64 v[254:255], 0.5, v[8:9] :: v_dual_subrev_f32 v7, 0.5, v2 ; encoding: [0xf0,0x60,0x8c,0xcf,0xf0,0x00,0x08,0x00,0xfe,0x02,0x00,0x07]
// W64-ERR: :[[@LINE-2]]:1: error: instruction requires wavesize=32

v_dual_max_num_f64 v[254:255], -1, v[6:7] :: v_dual_subrev_f32 v7, src_scc, v5
// GFX1250: v_dual_max_num_f64 v[254:255], -1, v[6:7] :: v_dual_subrev_f32 v7, src_scc, v5 ; encoding: [0xc1,0x60,0x8c,0xcf,0xfd,0x00,0x06,0x00,0xfe,0x05,0x00,0x07]
// W64-ERR: :[[@LINE-2]]:1: error: instruction requires wavesize=32

v_dual_max_num_f64 v[2:3], v[6:7], v[4:5] :: v_dual_fma_f32 v9, v1, v14, v4
// GFX1250: v_dual_max_num_f64 v[2:3], v[6:7], v[4:5] :: v_dual_fma_f32 v9, v1, v14, v4 ; encoding: [0x06,0x31,0x8d,0xcf,0x01,0x01,0x04,0x00,0x02,0x0e,0x04,0x09]
// W64-ERR: :[[@LINE-2]]:1: error: instruction requires wavesize=32

v_dual_max_num_f64 v[2:3], v[6:7], v[4:5] :: v_dual_sub_nc_u32 v9, v1, v14
// GFX1250: v_dual_max_num_f64 v[2:3], v[6:7], v[4:5] :: v_dual_sub_nc_u32 v9, v1, v14 ; encoding: [0x06,0x41,0x8d,0xcf,0x01,0x01,0x04,0x00,0x02,0x0e,0x00,0x09]
// W64-ERR: :[[@LINE-2]]:1: error: instruction requires wavesize=32

v_dual_max_num_f64 v[2:3], v[6:7], v[4:5] :: v_dual_lshrrev_b32 v9, v1, v14
// GFX1250: v_dual_max_num_f64 v[2:3], v[6:7], v[4:5] :: v_dual_lshrrev_b32 v9, v1, v14 ; encoding: [0x06,0x51,0x8d,0xcf,0x01,0x01,0x04,0x00,0x02,0x0e,0x00,0x09]
// W64-ERR: :[[@LINE-2]]:1: error: instruction requires wavesize=32

v_dual_max_num_f64 v[2:3], v[6:7], v[4:5] :: v_dual_ashrrev_i32 v9, v1, v14
// GFX1250: v_dual_max_num_f64 v[2:3], v[6:7], v[4:5] :: v_dual_ashrrev_i32 v9, v1, v14 ; encoding: [0x06,0x61,0x8d,0xcf,0x01,0x01,0x04,0x00,0x02,0x0e,0x00,0x09]
// W64-ERR: :[[@LINE-2]]:1: error: instruction requires wavesize=32

v_dual_max_num_f64 v[2:3], v[6:7], v[4:5] :: v_dual_bitop2_b32 v7, v1, v3 bitop3:0x94
// GFX1250: v_dual_max_num_f64 v[2:3], v[6:7], v[4:5] :: v_dual_bitop2_b32 v7, v1, v3 bitop3:0x94 ; encoding: [0x06,0x21,0x8d,0xcf,0x01,0x01,0x04,0x00,0x02,0x03,0x94,0x07]
// W64-ERR: :[[@LINE-2]]:1: error: instruction requires wavesize=32

v_dual_min_num_f64 v[252:253], v[6:7], v[4:5] :: v_dual_add_f32 v8, v1, v3
// GFX1250: v_dual_min_num_f64 v[252:253], v[6:7], v[4:5] :: v_dual_add_f32 v8, v1, v3 ; encoding: [0x06,0x41,0x90,0xcf,0x01,0x01,0x04,0x00,0xfc,0x03,0x00,0x08]
// W64-ERR: :[[@LINE-2]]:1: error: instruction requires wavesize=32

v_dual_min_num_f64 v[254:255], v[2:3], v[4:5] :: v_dual_add_f32 v7, v253, v3
// GFX1250: v_dual_min_num_f64 v[254:255], v[2:3], v[4:5] :: v_dual_add_f32 v7, v253, v3 ; encoding: [0x02,0x41,0x90,0xcf,0xfd,0x01,0x04,0x00,0xfe,0x03,0x00,0x07]
	;; [unrolled: 4-line block ×6, first 2 shown]
// W64-ERR: :[[@LINE-2]]:1: error: instruction requires wavesize=32

v_dual_min_num_f64 v[254:255], ttmp[14:15], v[4:5] :: v_dual_add_f32 v7, vcc_lo, v3
// GFX1250: v_dual_min_num_f64 v[254:255], ttmp[14:15], v[4:5] :: v_dual_add_f32 v7, vcc_lo, v3 ; encoding: [0x7a,0x40,0x90,0xcf,0x6a,0x00,0x04,0x00,0xfe,0x03,0x00,0x07]
// W64-ERR: :[[@LINE-2]]:1: error: instruction requires wavesize=32

v_dual_min_num_f64 v[254:255], exec, v[4:5] :: v_dual_add_f32 v7, v15, v3
// GFX1250: v_dual_min_num_f64 v[254:255], exec, v[4:5] :: v_dual_add_f32 v7, v15, v3 ; encoding: [0x7e,0x40,0x90,0xcf,0x0f,0x01,0x04,0x00,0xfe,0x03,0x00,0x07]
// W64-ERR: :[[@LINE-2]]:1: error: instruction requires wavesize=32

v_dual_min_num_f64 v[254:255], vcc, v[4:5] :: v_dual_add_f32 v7, exec_hi, v3
// GFX1250: v_dual_min_num_f64 v[254:255], vcc, v[4:5] :: v_dual_add_f32 v7, exec_hi, v3 ; encoding: [0x6a,0x40,0x90,0xcf,0x7f,0x00,0x04,0x00,0xfe,0x03,0x00,0x07]
// W64-ERR: :[[@LINE-2]]:1: error: instruction requires wavesize=32

v_dual_min_num_f64 v[254:255], src_scc, v[4:5] :: v_dual_add_f32 v7, -1, v3
// GFX1250: v_dual_min_num_f64 v[254:255], src_scc, v[4:5] :: v_dual_add_f32 v7, -1, v3 ; encoding: [0xfd,0x40,0x90,0xcf,0xc1,0x00,0x04,0x00,0xfe,0x03,0x00,0x07]
// W64-ERR: :[[@LINE-2]]:1: error: instruction requires wavesize=32

v_dual_min_num_f64 v[254:255], 0.5, v[8:9] :: v_dual_add_f32 v7, 0.5, v2
// GFX1250: v_dual_min_num_f64 v[254:255], 0.5, v[8:9] :: v_dual_add_f32 v7, 0.5, v2 ; encoding: [0xf0,0x40,0x90,0xcf,0xf0,0x00,0x08,0x00,0xfe,0x02,0x00,0x07]
// W64-ERR: :[[@LINE-2]]:1: error: instruction requires wavesize=32

v_dual_min_num_f64 v[254:255], -1, v[6:7] :: v_dual_add_f32 v7, src_scc, v5
// GFX1250: v_dual_min_num_f64 v[254:255], -1, v[6:7] :: v_dual_add_f32 v7, src_scc, v5 ; encoding: [0xc1,0x40,0x90,0xcf,0xfd,0x00,0x06,0x00,0xfe,0x05,0x00,0x07]
// W64-ERR: :[[@LINE-2]]:1: error: instruction requires wavesize=32

v_dual_min_num_f64 v[254:255], v[4:5], v[4:5] :: v_dual_add_nc_u32 v7, v2, v3
// GFX1250: v_dual_min_num_f64 v[254:255], v[4:5], v[4:5] :: v_dual_add_nc_u32 v7, v2, v3 ; encoding: [0x04,0x01,0x91,0xcf,0x02,0x01,0x04,0x00,0xfe,0x03,0x00,0x07]
// W64-ERR: :[[@LINE-2]]:1: error: instruction requires wavesize=32

v_dual_min_num_f64 v[254:255], v[2:3], v[4:5] :: v_dual_add_nc_u32 v7, v253, v3
// GFX1250: v_dual_min_num_f64 v[254:255], v[2:3], v[4:5] :: v_dual_add_nc_u32 v7, v253, v3 ; encoding: [0x02,0x01,0x91,0xcf,0xfd,0x01,0x04,0x00,0xfe,0x03,0x00,0x07]
	;; [unrolled: 4-line block ×6, first 2 shown]
// W64-ERR: :[[@LINE-2]]:1: error: instruction requires wavesize=32

v_dual_min_num_f64 v[254:255], ttmp[14:15], v[4:5] :: v_dual_add_nc_u32 v7, vcc_lo, v3
// GFX1250: v_dual_min_num_f64 v[254:255], ttmp[14:15], v[4:5] :: v_dual_add_nc_u32 v7, vcc_lo, v3 ; encoding: [0x7a,0x00,0x91,0xcf,0x6a,0x00,0x04,0x00,0xfe,0x03,0x00,0x07]
// W64-ERR: :[[@LINE-2]]:1: error: instruction requires wavesize=32

v_dual_min_num_f64 v[254:255], exec, v[4:5] :: v_dual_add_nc_u32 v7, v15, v3
// GFX1250: v_dual_min_num_f64 v[254:255], exec, v[4:5] :: v_dual_add_nc_u32 v7, v15, v3 ; encoding: [0x7e,0x00,0x91,0xcf,0x0f,0x01,0x04,0x00,0xfe,0x03,0x00,0x07]
// W64-ERR: :[[@LINE-2]]:1: error: instruction requires wavesize=32

v_dual_min_num_f64 v[254:255], vcc, v[4:5] :: v_dual_add_nc_u32 v7, exec_hi, v3
// GFX1250: v_dual_min_num_f64 v[254:255], vcc, v[4:5] :: v_dual_add_nc_u32 v7, exec_hi, v3 ; encoding: [0x6a,0x00,0x91,0xcf,0x7f,0x00,0x04,0x00,0xfe,0x03,0x00,0x07]
// W64-ERR: :[[@LINE-2]]:1: error: instruction requires wavesize=32

v_dual_min_num_f64 v[254:255], src_scc, v[4:5] :: v_dual_add_nc_u32 v7, -1, v3
// GFX1250: v_dual_min_num_f64 v[254:255], src_scc, v[4:5] :: v_dual_add_nc_u32 v7, -1, v3 ; encoding: [0xfd,0x00,0x91,0xcf,0xc1,0x00,0x04,0x00,0xfe,0x03,0x00,0x07]
// W64-ERR: :[[@LINE-2]]:1: error: instruction requires wavesize=32

v_dual_min_num_f64 v[254:255], 0.5, v[8:9] :: v_dual_add_nc_u32 v7, 0.5, v2
// GFX1250: v_dual_min_num_f64 v[254:255], 0.5, v[8:9] :: v_dual_add_nc_u32 v7, 0.5, v2 ; encoding: [0xf0,0x00,0x91,0xcf,0xf0,0x00,0x08,0x00,0xfe,0x02,0x00,0x07]
// W64-ERR: :[[@LINE-2]]:1: error: instruction requires wavesize=32

v_dual_min_num_f64 v[254:255], -1, v[6:7] :: v_dual_add_nc_u32 v7, src_scc, v5
// GFX1250: v_dual_min_num_f64 v[254:255], -1, v[6:7] :: v_dual_add_nc_u32 v7, src_scc, v5 ; encoding: [0xc1,0x00,0x91,0xcf,0xfd,0x00,0x06,0x00,0xfe,0x05,0x00,0x07]
// W64-ERR: :[[@LINE-2]]:1: error: instruction requires wavesize=32

v_dual_min_num_f64 v[254:255], v[4:5], v[4:5] :: v_dual_cndmask_b32 v7, v2, v3, vcc_lo
// GFX1250: v_dual_min_num_f64 v[254:255], v[4:5], v[4:5] :: v_dual_cndmask_b32 v7, v2, v3, vcc_lo ; encoding: [0x04,0x91,0x90,0xcf,0x02,0x01,0x04,0x00,0xfe,0x03,0x6a,0x07]
// W64-ERR: :[[@LINE-2]]:1: error: instruction requires wavesize=32

v_dual_min_num_f64 v[254:255], v[2:3], v[4:5] :: v_dual_cndmask_b32 v7, v253, v3, vcc_lo
// GFX1250: v_dual_min_num_f64 v[254:255], v[2:3], v[4:5] :: v_dual_cndmask_b32 v7, v253, v3, vcc_lo ; encoding: [0x02,0x91,0x90,0xcf,0xfd,0x01,0x04,0x00,0xfe,0x03,0x6a,0x07]
	;; [unrolled: 4-line block ×6, first 2 shown]
// W64-ERR: :[[@LINE-2]]:1: error: instruction requires wavesize=32

v_dual_min_num_f64 v[254:255], ttmp[14:15], v[4:5] :: v_dual_cndmask_b32 v7, v15, v3, vcc_lo
// GFX1250: v_dual_min_num_f64 v[254:255], ttmp[14:15], v[4:5] :: v_dual_cndmask_b32 v7, v15, v3, vcc_lo ; encoding: [0x7a,0x90,0x90,0xcf,0x0f,0x01,0x04,0x00,0xfe,0x03,0x6a,0x07]
// W64-ERR: :[[@LINE-2]]:1: error: instruction requires wavesize=32

v_dual_min_num_f64 v[254:255], exec, v[4:5] :: v_dual_cndmask_b32 v7, v10, v3, vcc_lo
// GFX1250: v_dual_min_num_f64 v[254:255], exec, v[4:5] :: v_dual_cndmask_b32 v7, v10, v3, vcc_lo ; encoding: [0x7e,0x90,0x90,0xcf,0x0a,0x01,0x04,0x00,0xfe,0x03,0x6a,0x07]
// W64-ERR: :[[@LINE-2]]:1: error: instruction requires wavesize=32

v_dual_min_num_f64 v[254:255], vcc, v[4:5] :: v_dual_cndmask_b32 v7, vcc_lo, v3, vcc_lo
// GFX1250: v_dual_min_num_f64 v[254:255], vcc, v[4:5] :: v_dual_cndmask_b32 v7, vcc_lo, v3, vcc_lo ; encoding: [0x6a,0x90,0x90,0xcf,0x6a,0x00,0x04,0x00,0xfe,0x03,0x6a,0x07]
// W64-ERR: :[[@LINE-2]]:1: error: instruction requires wavesize=32

v_dual_min_num_f64 v[254:255], src_scc, v[4:5] :: v_dual_cndmask_b32 v7, -1, v3, vcc_lo
// GFX1250: v_dual_min_num_f64 v[254:255], src_scc, v[4:5] :: v_dual_cndmask_b32 v7, -1, v3, vcc_lo ; encoding: [0xfd,0x90,0x90,0xcf,0xc1,0x00,0x04,0x00,0xfe,0x03,0x6a,0x07]
// W64-ERR: :[[@LINE-2]]:1: error: instruction requires wavesize=32

v_dual_min_num_f64 v[254:255], 0.5, v[8:9] :: v_dual_cndmask_b32 v7, 0.5, v2, vcc_lo
// GFX1250: v_dual_min_num_f64 v[254:255], 0.5, v[8:9] :: v_dual_cndmask_b32 v7, 0.5, v2, vcc_lo ; encoding: [0xf0,0x90,0x90,0xcf,0xf0,0x00,0x08,0x00,0xfe,0x02,0x6a,0x07]
// W64-ERR: :[[@LINE-2]]:1: error: instruction requires wavesize=32

v_dual_min_num_f64 v[254:255], -1, v[6:7] :: v_dual_cndmask_b32 v7, src_scc, v5, vcc_lo
// GFX1250: v_dual_min_num_f64 v[254:255], -1, v[6:7] :: v_dual_cndmask_b32 v7, src_scc, v5, vcc_lo ; encoding: [0xc1,0x90,0x90,0xcf,0xfd,0x00,0x06,0x00,0xfe,0x05,0x6a,0x07]
// W64-ERR: :[[@LINE-2]]:1: error: instruction requires wavesize=32

v_dual_min_num_f64 v[254:255], v[4:5], v[4:5] :: v_dual_fmac_f32 v9, v2, v3
// GFX1250: v_dual_min_num_f64 v[254:255], v[4:5], v[4:5] :: v_dual_fmac_f32 v9, v2, v3 ; encoding: [0x04,0x01,0x90,0xcf,0x02,0x01,0x04,0x00,0xfe,0x03,0x00,0x09]
// W64-ERR: :[[@LINE-2]]:1: error: instruction requires wavesize=32

v_dual_min_num_f64 v[254:255], v[2:3], v[4:5] :: v_dual_fmac_f32 v9, v253, v3
// GFX1250: v_dual_min_num_f64 v[254:255], v[2:3], v[4:5] :: v_dual_fmac_f32 v9, v253, v3 ; encoding: [0x02,0x01,0x90,0xcf,0xfd,0x01,0x04,0x00,0xfe,0x03,0x00,0x09]
	;; [unrolled: 4-line block ×6, first 2 shown]
// W64-ERR: :[[@LINE-2]]:1: error: instruction requires wavesize=32

v_dual_min_num_f64 v[254:255], ttmp[14:15], v[4:5] :: v_dual_fmac_f32 v9, vcc_lo, v3
// GFX1250: v_dual_min_num_f64 v[254:255], ttmp[14:15], v[4:5] :: v_dual_fmac_f32 v9, vcc_lo, v3 ; encoding: [0x7a,0x00,0x90,0xcf,0x6a,0x00,0x04,0x00,0xfe,0x03,0x00,0x09]
// W64-ERR: :[[@LINE-2]]:1: error: instruction requires wavesize=32

v_dual_min_num_f64 v[254:255], exec, v[4:5] :: v_dual_fmac_f32 v9, v15, v3
// GFX1250: v_dual_min_num_f64 v[254:255], exec, v[4:5] :: v_dual_fmac_f32 v9, v15, v3 ; encoding: [0x7e,0x00,0x90,0xcf,0x0f,0x01,0x04,0x00,0xfe,0x03,0x00,0x09]
// W64-ERR: :[[@LINE-2]]:1: error: instruction requires wavesize=32

v_dual_min_num_f64 v[254:255], vcc, v[4:5] :: v_dual_fmac_f32 v9, exec_hi, v3
// GFX1250: v_dual_min_num_f64 v[254:255], vcc, v[4:5] :: v_dual_fmac_f32 v9, exec_hi, v3 ; encoding: [0x6a,0x00,0x90,0xcf,0x7f,0x00,0x04,0x00,0xfe,0x03,0x00,0x09]
// W64-ERR: :[[@LINE-2]]:1: error: instruction requires wavesize=32

v_dual_min_num_f64 v[254:255], src_scc, v[4:5] :: v_dual_fmac_f32 v9, -1, v3
// GFX1250: v_dual_min_num_f64 v[254:255], src_scc, v[4:5] :: v_dual_fmac_f32 v9, -1, v3 ; encoding: [0xfd,0x00,0x90,0xcf,0xc1,0x00,0x04,0x00,0xfe,0x03,0x00,0x09]
// W64-ERR: :[[@LINE-2]]:1: error: instruction requires wavesize=32

v_dual_min_num_f64 v[254:255], 0.5, v[8:9] :: v_dual_fmac_f32 v9, 0.5, v2
// GFX1250: v_dual_min_num_f64 v[254:255], 0.5, v[8:9] :: v_dual_fmac_f32 v9, 0.5, v2 ; encoding: [0xf0,0x00,0x90,0xcf,0xf0,0x00,0x08,0x00,0xfe,0x02,0x00,0x09]
// W64-ERR: :[[@LINE-2]]:1: error: instruction requires wavesize=32

v_dual_min_num_f64 v[254:255], -1, v[6:7] :: v_dual_fmac_f32 v9, src_scc, v5
// GFX1250: v_dual_min_num_f64 v[254:255], -1, v[6:7] :: v_dual_fmac_f32 v9, src_scc, v5 ; encoding: [0xc1,0x00,0x90,0xcf,0xfd,0x00,0x06,0x00,0xfe,0x05,0x00,0x09]
// W64-ERR: :[[@LINE-2]]:1: error: instruction requires wavesize=32

v_dual_min_num_f64 v[254:255], v[4:5], v[4:5] :: v_dual_lshlrev_b32 v7, v2, v3
// GFX1250: v_dual_min_num_f64 v[254:255], v[4:5], v[4:5] :: v_dual_lshlrev_b32 v7, v2, v3 ; encoding: [0x04,0x11,0x91,0xcf,0x02,0x01,0x04,0x00,0xfe,0x03,0x00,0x07]
// W64-ERR: :[[@LINE-2]]:1: error: instruction requires wavesize=32

v_dual_min_num_f64 v[254:255], v[2:3], v[4:5] :: v_dual_lshlrev_b32 v7, v253, v3
// GFX1250: v_dual_min_num_f64 v[254:255], v[2:3], v[4:5] :: v_dual_lshlrev_b32 v7, v253, v3 ; encoding: [0x02,0x11,0x91,0xcf,0xfd,0x01,0x04,0x00,0xfe,0x03,0x00,0x07]
// W64-ERR: :[[@LINE-2]]:1: error: instruction requires wavesize=32

v_dual_min_num_f64 v[254:255], v[254:255], v[4:5] :: v_dual_lshlrev_b32 v7, v5, v3
// GFX1250: v_dual_min_num_f64 v[254:255], v[254:255], v[4:5] :: v_dual_lshlrev_b32 v7, v5, v3 ; encoding: [0xfe,0x11,0x91,0xcf,0x05,0x01,0x04,0x00,0xfe,0x03,0x00,0x07]
// W64-ERR: :[[@LINE-2]]:1: error: instruction requires wavesize=32

v_dual_min_num_f64 v[254:255], v[4:5], v[4:5] :: v_dual_lshlrev_b32 v7, v3, v3
// GFX1250: v_dual_min_num_f64 v[254:255], v[4:5], v[4:5] :: v_dual_lshlrev_b32 v7, v3, v3 ; encoding: [0x04,0x11,0x91,0xcf,0x03,0x01,0x04,0x00,0xfe,0x03,0x00,0x07]
// W64-ERR: :[[@LINE-2]]:1: error: instruction requires wavesize=32

v_dual_min_num_f64 v[254:255], v[6:7], v[4:5] :: v_dual_lshlrev_b32 v7, v4, v3
// GFX1250: v_dual_min_num_f64 v[254:255], v[6:7], v[4:5] :: v_dual_lshlrev_b32 v7, v4, v3 ; encoding: [0x06,0x11,0x91,0xcf,0x04,0x01,0x04,0x00,0xfe,0x03,0x00,0x07]
// W64-ERR: :[[@LINE-2]]:1: error: instruction requires wavesize=32

v_dual_min_num_f64 v[254:255], s[104:105], v[4:5] :: v_dual_lshlrev_b32 v7, v1, v3
// GFX1250: v_dual_min_num_f64 v[254:255], s[104:105], v[4:5] :: v_dual_lshlrev_b32 v7, v1, v3 ; encoding: [0x68,0x10,0x91,0xcf,0x01,0x01,0x04,0x00,0xfe,0x03,0x00,0x07]
// W64-ERR: :[[@LINE-2]]:1: error: instruction requires wavesize=32

v_dual_min_num_f64 v[254:255], ttmp[14:15], v[4:5] :: v_dual_lshlrev_b32 v7, vcc_lo, v3
// GFX1250: v_dual_min_num_f64 v[254:255], ttmp[14:15], v[4:5] :: v_dual_lshlrev_b32 v7, vcc_lo, v3 ; encoding: [0x7a,0x10,0x91,0xcf,0x6a,0x00,0x04,0x00,0xfe,0x03,0x00,0x07]
// W64-ERR: :[[@LINE-2]]:1: error: instruction requires wavesize=32

v_dual_min_num_f64 v[254:255], exec, v[4:5] :: v_dual_lshlrev_b32 v7, v15, v3
// GFX1250: v_dual_min_num_f64 v[254:255], exec, v[4:5] :: v_dual_lshlrev_b32 v7, v15, v3 ; encoding: [0x7e,0x10,0x91,0xcf,0x0f,0x01,0x04,0x00,0xfe,0x03,0x00,0x07]
// W64-ERR: :[[@LINE-2]]:1: error: instruction requires wavesize=32

v_dual_min_num_f64 v[254:255], vcc, v[4:5] :: v_dual_lshlrev_b32 v7, exec_hi, v3
// GFX1250: v_dual_min_num_f64 v[254:255], vcc, v[4:5] :: v_dual_lshlrev_b32 v7, exec_hi, v3 ; encoding: [0x6a,0x10,0x91,0xcf,0x7f,0x00,0x04,0x00,0xfe,0x03,0x00,0x07]
// W64-ERR: :[[@LINE-2]]:1: error: instruction requires wavesize=32

v_dual_min_num_f64 v[254:255], src_scc, v[4:5] :: v_dual_lshlrev_b32 v7, -1, v3
// GFX1250: v_dual_min_num_f64 v[254:255], src_scc, v[4:5] :: v_dual_lshlrev_b32 v7, -1, v3 ; encoding: [0xfd,0x10,0x91,0xcf,0xc1,0x00,0x04,0x00,0xfe,0x03,0x00,0x07]
// W64-ERR: :[[@LINE-2]]:1: error: instruction requires wavesize=32

v_dual_min_num_f64 v[254:255], 0.5, v[8:9] :: v_dual_lshlrev_b32 v7, 0.5, v2
// GFX1250: v_dual_min_num_f64 v[254:255], 0.5, v[8:9] :: v_dual_lshlrev_b32 v7, 0.5, v2 ; encoding: [0xf0,0x10,0x91,0xcf,0xf0,0x00,0x08,0x00,0xfe,0x02,0x00,0x07]
// W64-ERR: :[[@LINE-2]]:1: error: instruction requires wavesize=32

v_dual_min_num_f64 v[254:255], -1, v[6:7] :: v_dual_lshlrev_b32 v7, src_scc, v5
// GFX1250: v_dual_min_num_f64 v[254:255], -1, v[6:7] :: v_dual_lshlrev_b32 v7, src_scc, v5 ; encoding: [0xc1,0x10,0x91,0xcf,0xfd,0x00,0x06,0x00,0xfe,0x05,0x00,0x07]
// W64-ERR: :[[@LINE-2]]:1: error: instruction requires wavesize=32

v_dual_min_num_f64 v[254:255], v[4:5], v[4:5] :: v_dual_max_num_f32 v7, v2, v3
// GFX1250: v_dual_min_num_f64 v[254:255], v[4:5], v[4:5] :: v_dual_max_num_f32 v7, v2, v3 ; encoding: [0x04,0xa1,0x90,0xcf,0x02,0x01,0x04,0x00,0xfe,0x03,0x00,0x07]
// W64-ERR: :[[@LINE-2]]:1: error: instruction requires wavesize=32

v_dual_min_num_f64 v[254:255], v[2:3], v[4:5] :: v_dual_max_num_f32 v7, v253, v3
// GFX1250: v_dual_min_num_f64 v[254:255], v[2:3], v[4:5] :: v_dual_max_num_f32 v7, v253, v3 ; encoding: [0x02,0xa1,0x90,0xcf,0xfd,0x01,0x04,0x00,0xfe,0x03,0x00,0x07]
	;; [unrolled: 4-line block ×6, first 2 shown]
// W64-ERR: :[[@LINE-2]]:1: error: instruction requires wavesize=32

v_dual_min_num_f64 v[254:255], ttmp[14:15], v[4:5] :: v_dual_max_num_f32 v7, vcc_lo, v3
// GFX1250: v_dual_min_num_f64 v[254:255], ttmp[14:15], v[4:5] :: v_dual_max_num_f32 v7, vcc_lo, v3 ; encoding: [0x7a,0xa0,0x90,0xcf,0x6a,0x00,0x04,0x00,0xfe,0x03,0x00,0x07]
// W64-ERR: :[[@LINE-2]]:1: error: instruction requires wavesize=32

v_dual_min_num_f64 v[254:255], exec, v[4:5] :: v_dual_max_num_f32 v7, v15, v3
// GFX1250: v_dual_min_num_f64 v[254:255], exec, v[4:5] :: v_dual_max_num_f32 v7, v15, v3 ; encoding: [0x7e,0xa0,0x90,0xcf,0x0f,0x01,0x04,0x00,0xfe,0x03,0x00,0x07]
// W64-ERR: :[[@LINE-2]]:1: error: instruction requires wavesize=32

v_dual_min_num_f64 v[254:255], vcc, v[4:5] :: v_dual_max_num_f32 v7, exec_hi, v3
// GFX1250: v_dual_min_num_f64 v[254:255], vcc, v[4:5] :: v_dual_max_num_f32 v7, exec_hi, v3 ; encoding: [0x6a,0xa0,0x90,0xcf,0x7f,0x00,0x04,0x00,0xfe,0x03,0x00,0x07]
// W64-ERR: :[[@LINE-2]]:1: error: instruction requires wavesize=32

v_dual_min_num_f64 v[254:255], src_scc, v[4:5] :: v_dual_max_num_f32 v7, -1, v3
// GFX1250: v_dual_min_num_f64 v[254:255], src_scc, v[4:5] :: v_dual_max_num_f32 v7, -1, v3 ; encoding: [0xfd,0xa0,0x90,0xcf,0xc1,0x00,0x04,0x00,0xfe,0x03,0x00,0x07]
// W64-ERR: :[[@LINE-2]]:1: error: instruction requires wavesize=32

v_dual_min_num_f64 v[254:255], 0.5, v[8:9] :: v_dual_max_num_f32 v7, 0.5, v2
// GFX1250: v_dual_min_num_f64 v[254:255], 0.5, v[8:9] :: v_dual_max_num_f32 v7, 0.5, v2 ; encoding: [0xf0,0xa0,0x90,0xcf,0xf0,0x00,0x08,0x00,0xfe,0x02,0x00,0x07]
// W64-ERR: :[[@LINE-2]]:1: error: instruction requires wavesize=32

v_dual_min_num_f64 v[254:255], -1, v[6:7] :: v_dual_max_num_f32 v7, src_scc, v5
// GFX1250: v_dual_min_num_f64 v[254:255], -1, v[6:7] :: v_dual_max_num_f32 v7, src_scc, v5 ; encoding: [0xc1,0xa0,0x90,0xcf,0xfd,0x00,0x06,0x00,0xfe,0x05,0x00,0x07]
// W64-ERR: :[[@LINE-2]]:1: error: instruction requires wavesize=32

v_dual_min_num_f64 v[254:255], v[4:5], v[4:5] :: v_dual_min_num_f32 v7, v2, v3
// GFX1250: v_dual_min_num_f64 v[254:255], v[4:5], v[4:5] :: v_dual_min_num_f32 v7, v2, v3 ; encoding: [0x04,0xb1,0x90,0xcf,0x02,0x01,0x04,0x00,0xfe,0x03,0x00,0x07]
// W64-ERR: :[[@LINE-2]]:1: error: instruction requires wavesize=32

v_dual_min_num_f64 v[254:255], v[2:3], v[4:5] :: v_dual_min_num_f32 v7, v253, v3
// GFX1250: v_dual_min_num_f64 v[254:255], v[2:3], v[4:5] :: v_dual_min_num_f32 v7, v253, v3 ; encoding: [0x02,0xb1,0x90,0xcf,0xfd,0x01,0x04,0x00,0xfe,0x03,0x00,0x07]
	;; [unrolled: 4-line block ×6, first 2 shown]
// W64-ERR: :[[@LINE-2]]:1: error: instruction requires wavesize=32

v_dual_min_num_f64 v[254:255], ttmp[14:15], v[4:5] :: v_dual_min_num_f32 v7, vcc_lo, v3
// GFX1250: v_dual_min_num_f64 v[254:255], ttmp[14:15], v[4:5] :: v_dual_min_num_f32 v7, vcc_lo, v3 ; encoding: [0x7a,0xb0,0x90,0xcf,0x6a,0x00,0x04,0x00,0xfe,0x03,0x00,0x07]
// W64-ERR: :[[@LINE-2]]:1: error: instruction requires wavesize=32

v_dual_min_num_f64 v[254:255], exec, v[4:5] :: v_dual_min_num_f32 v7, v15, v3
// GFX1250: v_dual_min_num_f64 v[254:255], exec, v[4:5] :: v_dual_min_num_f32 v7, v15, v3 ; encoding: [0x7e,0xb0,0x90,0xcf,0x0f,0x01,0x04,0x00,0xfe,0x03,0x00,0x07]
// W64-ERR: :[[@LINE-2]]:1: error: instruction requires wavesize=32

v_dual_min_num_f64 v[254:255], vcc, v[4:5] :: v_dual_min_num_f32 v7, exec_hi, v3
// GFX1250: v_dual_min_num_f64 v[254:255], vcc, v[4:5] :: v_dual_min_num_f32 v7, exec_hi, v3 ; encoding: [0x6a,0xb0,0x90,0xcf,0x7f,0x00,0x04,0x00,0xfe,0x03,0x00,0x07]
// W64-ERR: :[[@LINE-2]]:1: error: instruction requires wavesize=32

v_dual_min_num_f64 v[254:255], src_scc, v[4:5] :: v_dual_min_num_f32 v7, -1, v3
// GFX1250: v_dual_min_num_f64 v[254:255], src_scc, v[4:5] :: v_dual_min_num_f32 v7, -1, v3 ; encoding: [0xfd,0xb0,0x90,0xcf,0xc1,0x00,0x04,0x00,0xfe,0x03,0x00,0x07]
// W64-ERR: :[[@LINE-2]]:1: error: instruction requires wavesize=32

v_dual_min_num_f64 v[254:255], 0.5, v[8:9] :: v_dual_min_num_f32 v7, 0.5, v2
// GFX1250: v_dual_min_num_f64 v[254:255], 0.5, v[8:9] :: v_dual_min_num_f32 v7, 0.5, v2 ; encoding: [0xf0,0xb0,0x90,0xcf,0xf0,0x00,0x08,0x00,0xfe,0x02,0x00,0x07]
// W64-ERR: :[[@LINE-2]]:1: error: instruction requires wavesize=32

v_dual_min_num_f64 v[254:255], -1, v[6:7] :: v_dual_min_num_f32 v7, src_scc, v5
// GFX1250: v_dual_min_num_f64 v[254:255], -1, v[6:7] :: v_dual_min_num_f32 v7, src_scc, v5 ; encoding: [0xc1,0xb0,0x90,0xcf,0xfd,0x00,0x06,0x00,0xfe,0x05,0x00,0x07]
// W64-ERR: :[[@LINE-2]]:1: error: instruction requires wavesize=32

v_dual_min_num_f64 v[254:255], v[4:5], v[254:255] :: v_dual_mov_b32 v7, v3
// GFX1250: v_dual_min_num_f64 v[254:255], v[4:5], v[254:255] :: v_dual_mov_b32 v7, v3 ; encoding: [0x04,0x81,0x90,0xcf,0x03,0x01,0xfe,0x00,0xfe,0x00,0x00,0x07]
// W64-ERR: :[[@LINE-2]]:1: error: instruction requires wavesize=32

v_dual_min_num_f64 v[254:255], v[2:3], v[254:255] :: v_dual_mov_b32 v7, v253
// GFX1250: v_dual_min_num_f64 v[254:255], v[2:3], v[254:255] :: v_dual_mov_b32 v7, v253 ; encoding: [0x02,0x81,0x90,0xcf,0xfd,0x01,0xfe,0x00,0xfe,0x00,0x00,0x07]
	;; [unrolled: 4-line block ×7, first 2 shown]
// W64-ERR: :[[@LINE-2]]:1: error: instruction requires wavesize=32

v_dual_min_num_f64 v[254:255], ttmp[14:15], v[254:255] :: v_dual_mov_b32 v7, vcc_lo
// GFX1250: v_dual_min_num_f64 v[254:255], ttmp[14:15], v[254:255] :: v_dual_mov_b32 v7, vcc_lo ; encoding: [0x7a,0x80,0x90,0xcf,0x6a,0x00,0xfe,0x00,0xfe,0x00,0x00,0x07]
// W64-ERR: :[[@LINE-2]]:1: error: instruction requires wavesize=32

v_dual_min_num_f64 v[254:255], exec, v[254:255] :: v_dual_mov_b32 v7, ttmp15
// GFX1250: v_dual_min_num_f64 v[254:255], exec, v[254:255] :: v_dual_mov_b32 v7, ttmp15 ; encoding: [0x7e,0x80,0x90,0xcf,0x7b,0x00,0xfe,0x00,0xfe,0x00,0x00,0x07]
// W64-ERR: :[[@LINE-2]]:1: error: instruction requires wavesize=32

v_dual_min_num_f64 v[254:255], vcc, v[254:255] :: v_dual_mov_b32 v7, exec_hi
// GFX1250: v_dual_min_num_f64 v[254:255], vcc, v[254:255] :: v_dual_mov_b32 v7, exec_hi ; encoding: [0x6a,0x80,0x90,0xcf,0x7f,0x00,0xfe,0x00,0xfe,0x00,0x00,0x07]
// W64-ERR: :[[@LINE-2]]:1: error: instruction requires wavesize=32

v_dual_min_num_f64 v[254:255], src_scc, v[254:255] :: v_dual_mov_b32 v7, -1
// GFX1250: v_dual_min_num_f64 v[254:255], src_scc, v[254:255] :: v_dual_mov_b32 v7, -1 ; encoding: [0xfd,0x80,0x90,0xcf,0xc1,0x00,0xfe,0x00,0xfe,0x00,0x00,0x07]
// W64-ERR: :[[@LINE-2]]:1: error: instruction requires wavesize=32

v_dual_min_num_f64 v[254:255], 0.5, v[8:9] :: v_dual_mov_b32 v7, 0.5
// GFX1250: v_dual_min_num_f64 v[254:255], 0.5, v[8:9] :: v_dual_mov_b32 v7, 0.5 ; encoding: [0xf0,0x80,0x90,0xcf,0xf0,0x00,0x08,0x00,0xfe,0x00,0x00,0x07]
// W64-ERR: :[[@LINE-2]]:1: error: instruction requires wavesize=32

v_dual_min_num_f64 v[254:255], -1, v[6:7] :: v_dual_mov_b32 v7, src_scc
// GFX1250: v_dual_min_num_f64 v[254:255], -1, v[6:7] :: v_dual_mov_b32 v7, src_scc ; encoding: [0xc1,0x80,0x90,0xcf,0xfd,0x00,0x06,0x00,0xfe,0x00,0x00,0x07]
// W64-ERR: :[[@LINE-2]]:1: error: instruction requires wavesize=32

v_dual_min_num_f64 v[254:255], v[4:5], v[4:5] :: v_dual_mul_dx9_zero_f32 v7, v2, v3
// GFX1250: v_dual_min_num_f64 v[254:255], v[4:5], v[4:5] :: v_dual_mul_dx9_zero_f32 v7, v2, v3 ; encoding: [0x04,0x71,0x90,0xcf,0x02,0x01,0x04,0x00,0xfe,0x03,0x00,0x07]
// W64-ERR: :[[@LINE-2]]:1: error: instruction requires wavesize=32

v_dual_min_num_f64 v[254:255], v[2:3], v[4:5] :: v_dual_mul_dx9_zero_f32 v7, v253, v3
// GFX1250: v_dual_min_num_f64 v[254:255], v[2:3], v[4:5] :: v_dual_mul_dx9_zero_f32 v7, v253, v3 ; encoding: [0x02,0x71,0x90,0xcf,0xfd,0x01,0x04,0x00,0xfe,0x03,0x00,0x07]
	;; [unrolled: 4-line block ×6, first 2 shown]
// W64-ERR: :[[@LINE-2]]:1: error: instruction requires wavesize=32

v_dual_min_num_f64 v[254:255], ttmp[14:15], v[4:5] :: v_dual_mul_dx9_zero_f32 v7, vcc_lo, v3
// GFX1250: v_dual_min_num_f64 v[254:255], ttmp[14:15], v[4:5] :: v_dual_mul_dx9_zero_f32 v7, vcc_lo, v3 ; encoding: [0x7a,0x70,0x90,0xcf,0x6a,0x00,0x04,0x00,0xfe,0x03,0x00,0x07]
// W64-ERR: :[[@LINE-2]]:1: error: instruction requires wavesize=32

v_dual_min_num_f64 v[254:255], exec, v[4:5] :: v_dual_mul_dx9_zero_f32 v7, v15, v3
// GFX1250: v_dual_min_num_f64 v[254:255], exec, v[4:5] :: v_dual_mul_dx9_zero_f32 v7, v15, v3 ; encoding: [0x7e,0x70,0x90,0xcf,0x0f,0x01,0x04,0x00,0xfe,0x03,0x00,0x07]
// W64-ERR: :[[@LINE-2]]:1: error: instruction requires wavesize=32

v_dual_min_num_f64 v[254:255], vcc, v[4:5] :: v_dual_mul_dx9_zero_f32 v7, exec_hi, v3
// GFX1250: v_dual_min_num_f64 v[254:255], vcc, v[4:5] :: v_dual_mul_dx9_zero_f32 v7, exec_hi, v3 ; encoding: [0x6a,0x70,0x90,0xcf,0x7f,0x00,0x04,0x00,0xfe,0x03,0x00,0x07]
// W64-ERR: :[[@LINE-2]]:1: error: instruction requires wavesize=32

v_dual_min_num_f64 v[254:255], src_scc, v[4:5] :: v_dual_mul_dx9_zero_f32 v7, -1, v3
// GFX1250: v_dual_min_num_f64 v[254:255], src_scc, v[4:5] :: v_dual_mul_dx9_zero_f32 v7, -1, v3 ; encoding: [0xfd,0x70,0x90,0xcf,0xc1,0x00,0x04,0x00,0xfe,0x03,0x00,0x07]
// W64-ERR: :[[@LINE-2]]:1: error: instruction requires wavesize=32

v_dual_min_num_f64 v[254:255], 0.5, v[8:9] :: v_dual_mul_dx9_zero_f32 v7, 0.5, v2
// GFX1250: v_dual_min_num_f64 v[254:255], 0.5, v[8:9] :: v_dual_mul_dx9_zero_f32 v7, 0.5, v2 ; encoding: [0xf0,0x70,0x90,0xcf,0xf0,0x00,0x08,0x00,0xfe,0x02,0x00,0x07]
// W64-ERR: :[[@LINE-2]]:1: error: instruction requires wavesize=32

v_dual_min_num_f64 v[254:255], -1, v[6:7] :: v_dual_mul_dx9_zero_f32 v7, src_scc, v5
// GFX1250: v_dual_min_num_f64 v[254:255], -1, v[6:7] :: v_dual_mul_dx9_zero_f32 v7, src_scc, v5 ; encoding: [0xc1,0x70,0x90,0xcf,0xfd,0x00,0x06,0x00,0xfe,0x05,0x00,0x07]
// W64-ERR: :[[@LINE-2]]:1: error: instruction requires wavesize=32

v_dual_min_num_f64 v[254:255], v[4:5], v[4:5] :: v_dual_mul_f32 v7, v2, v3
// GFX1250: v_dual_min_num_f64 v[254:255], v[4:5], v[4:5] :: v_dual_mul_f32 v7, v2, v3 ; encoding: [0x04,0x31,0x90,0xcf,0x02,0x01,0x04,0x00,0xfe,0x03,0x00,0x07]
// W64-ERR: :[[@LINE-2]]:1: error: instruction requires wavesize=32

v_dual_min_num_f64 v[254:255], v[2:3], v[4:5] :: v_dual_mul_f32 v7, v253, v3
// GFX1250: v_dual_min_num_f64 v[254:255], v[2:3], v[4:5] :: v_dual_mul_f32 v7, v253, v3 ; encoding: [0x02,0x31,0x90,0xcf,0xfd,0x01,0x04,0x00,0xfe,0x03,0x00,0x07]
	;; [unrolled: 4-line block ×6, first 2 shown]
// W64-ERR: :[[@LINE-2]]:1: error: instruction requires wavesize=32

v_dual_min_num_f64 v[254:255], ttmp[14:15], v[4:5] :: v_dual_mul_f32 v7, vcc_lo, v3
// GFX1250: v_dual_min_num_f64 v[254:255], ttmp[14:15], v[4:5] :: v_dual_mul_f32 v7, vcc_lo, v3 ; encoding: [0x7a,0x30,0x90,0xcf,0x6a,0x00,0x04,0x00,0xfe,0x03,0x00,0x07]
// W64-ERR: :[[@LINE-2]]:1: error: instruction requires wavesize=32

v_dual_min_num_f64 v[254:255], exec, v[4:5] :: v_dual_mul_f32 v7, v15, v3
// GFX1250: v_dual_min_num_f64 v[254:255], exec, v[4:5] :: v_dual_mul_f32 v7, v15, v3 ; encoding: [0x7e,0x30,0x90,0xcf,0x0f,0x01,0x04,0x00,0xfe,0x03,0x00,0x07]
// W64-ERR: :[[@LINE-2]]:1: error: instruction requires wavesize=32

v_dual_min_num_f64 v[254:255], vcc, v[4:5] :: v_dual_mul_f32 v7, exec_hi, v3
// GFX1250: v_dual_min_num_f64 v[254:255], vcc, v[4:5] :: v_dual_mul_f32 v7, exec_hi, v3 ; encoding: [0x6a,0x30,0x90,0xcf,0x7f,0x00,0x04,0x00,0xfe,0x03,0x00,0x07]
// W64-ERR: :[[@LINE-2]]:1: error: instruction requires wavesize=32

v_dual_min_num_f64 v[254:255], src_scc, v[4:5] :: v_dual_mul_f32 v7, -1, v3
// GFX1250: v_dual_min_num_f64 v[254:255], src_scc, v[4:5] :: v_dual_mul_f32 v7, -1, v3 ; encoding: [0xfd,0x30,0x90,0xcf,0xc1,0x00,0x04,0x00,0xfe,0x03,0x00,0x07]
// W64-ERR: :[[@LINE-2]]:1: error: instruction requires wavesize=32

v_dual_min_num_f64 v[254:255], 0.5, v[8:9] :: v_dual_mul_f32 v7, 0.5, v2
// GFX1250: v_dual_min_num_f64 v[254:255], 0.5, v[8:9] :: v_dual_mul_f32 v7, 0.5, v2 ; encoding: [0xf0,0x30,0x90,0xcf,0xf0,0x00,0x08,0x00,0xfe,0x02,0x00,0x07]
// W64-ERR: :[[@LINE-2]]:1: error: instruction requires wavesize=32

v_dual_min_num_f64 v[254:255], -1, v[6:7] :: v_dual_mul_f32 v7, src_scc, v5
// GFX1250: v_dual_min_num_f64 v[254:255], -1, v[6:7] :: v_dual_mul_f32 v7, src_scc, v5 ; encoding: [0xc1,0x30,0x90,0xcf,0xfd,0x00,0x06,0x00,0xfe,0x05,0x00,0x07]
// W64-ERR: :[[@LINE-2]]:1: error: instruction requires wavesize=32

v_dual_min_num_f64 v[254:255], v[4:5], v[4:5] :: v_dual_sub_f32 v7, v2, v3
// GFX1250: v_dual_min_num_f64 v[254:255], v[4:5], v[4:5] :: v_dual_sub_f32 v7, v2, v3 ; encoding: [0x04,0x51,0x90,0xcf,0x02,0x01,0x04,0x00,0xfe,0x03,0x00,0x07]
// W64-ERR: :[[@LINE-2]]:1: error: instruction requires wavesize=32

v_dual_min_num_f64 v[254:255], v[2:3], v[4:5] :: v_dual_sub_f32 v7, v253, v3
// GFX1250: v_dual_min_num_f64 v[254:255], v[2:3], v[4:5] :: v_dual_sub_f32 v7, v253, v3 ; encoding: [0x02,0x51,0x90,0xcf,0xfd,0x01,0x04,0x00,0xfe,0x03,0x00,0x07]
	;; [unrolled: 4-line block ×6, first 2 shown]
// W64-ERR: :[[@LINE-2]]:1: error: instruction requires wavesize=32

v_dual_min_num_f64 v[254:255], ttmp[14:15], v[4:5] :: v_dual_sub_f32 v7, vcc_lo, v3
// GFX1250: v_dual_min_num_f64 v[254:255], ttmp[14:15], v[4:5] :: v_dual_sub_f32 v7, vcc_lo, v3 ; encoding: [0x7a,0x50,0x90,0xcf,0x6a,0x00,0x04,0x00,0xfe,0x03,0x00,0x07]
// W64-ERR: :[[@LINE-2]]:1: error: instruction requires wavesize=32

v_dual_min_num_f64 v[254:255], exec, v[4:5] :: v_dual_sub_f32 v7, v15, v3
// GFX1250: v_dual_min_num_f64 v[254:255], exec, v[4:5] :: v_dual_sub_f32 v7, v15, v3 ; encoding: [0x7e,0x50,0x90,0xcf,0x0f,0x01,0x04,0x00,0xfe,0x03,0x00,0x07]
// W64-ERR: :[[@LINE-2]]:1: error: instruction requires wavesize=32

v_dual_min_num_f64 v[254:255], vcc, v[4:5] :: v_dual_sub_f32 v7, exec_hi, v3
// GFX1250: v_dual_min_num_f64 v[254:255], vcc, v[4:5] :: v_dual_sub_f32 v7, exec_hi, v3 ; encoding: [0x6a,0x50,0x90,0xcf,0x7f,0x00,0x04,0x00,0xfe,0x03,0x00,0x07]
// W64-ERR: :[[@LINE-2]]:1: error: instruction requires wavesize=32

v_dual_min_num_f64 v[254:255], src_scc, v[4:5] :: v_dual_sub_f32 v7, -1, v3
// GFX1250: v_dual_min_num_f64 v[254:255], src_scc, v[4:5] :: v_dual_sub_f32 v7, -1, v3 ; encoding: [0xfd,0x50,0x90,0xcf,0xc1,0x00,0x04,0x00,0xfe,0x03,0x00,0x07]
// W64-ERR: :[[@LINE-2]]:1: error: instruction requires wavesize=32

v_dual_min_num_f64 v[254:255], 0.5, v[8:9] :: v_dual_sub_f32 v7, 0.5, v2
// GFX1250: v_dual_min_num_f64 v[254:255], 0.5, v[8:9] :: v_dual_sub_f32 v7, 0.5, v2 ; encoding: [0xf0,0x50,0x90,0xcf,0xf0,0x00,0x08,0x00,0xfe,0x02,0x00,0x07]
// W64-ERR: :[[@LINE-2]]:1: error: instruction requires wavesize=32

v_dual_min_num_f64 v[254:255], -1, v[6:7] :: v_dual_sub_f32 v7, src_scc, v5
// GFX1250: v_dual_min_num_f64 v[254:255], -1, v[6:7] :: v_dual_sub_f32 v7, src_scc, v5 ; encoding: [0xc1,0x50,0x90,0xcf,0xfd,0x00,0x06,0x00,0xfe,0x05,0x00,0x07]
// W64-ERR: :[[@LINE-2]]:1: error: instruction requires wavesize=32

v_dual_min_num_f64 v[254:255], v[4:5], v[4:5] :: v_dual_subrev_f32 v7, v2, v3
// GFX1250: v_dual_min_num_f64 v[254:255], v[4:5], v[4:5] :: v_dual_subrev_f32 v7, v2, v3 ; encoding: [0x04,0x61,0x90,0xcf,0x02,0x01,0x04,0x00,0xfe,0x03,0x00,0x07]
// W64-ERR: :[[@LINE-2]]:1: error: instruction requires wavesize=32

v_dual_min_num_f64 v[254:255], v[2:3], v[4:5] :: v_dual_subrev_f32 v7, v253, v3
// GFX1250: v_dual_min_num_f64 v[254:255], v[2:3], v[4:5] :: v_dual_subrev_f32 v7, v253, v3 ; encoding: [0x02,0x61,0x90,0xcf,0xfd,0x01,0x04,0x00,0xfe,0x03,0x00,0x07]
	;; [unrolled: 4-line block ×6, first 2 shown]
// W64-ERR: :[[@LINE-2]]:1: error: instruction requires wavesize=32

v_dual_min_num_f64 v[254:255], ttmp[14:15], v[4:5] :: v_dual_subrev_f32 v7, vcc_lo, v3
// GFX1250: v_dual_min_num_f64 v[254:255], ttmp[14:15], v[4:5] :: v_dual_subrev_f32 v7, vcc_lo, v3 ; encoding: [0x7a,0x60,0x90,0xcf,0x6a,0x00,0x04,0x00,0xfe,0x03,0x00,0x07]
// W64-ERR: :[[@LINE-2]]:1: error: instruction requires wavesize=32

v_dual_min_num_f64 v[254:255], exec, v[4:5] :: v_dual_subrev_f32 v7, v15, v3
// GFX1250: v_dual_min_num_f64 v[254:255], exec, v[4:5] :: v_dual_subrev_f32 v7, v15, v3 ; encoding: [0x7e,0x60,0x90,0xcf,0x0f,0x01,0x04,0x00,0xfe,0x03,0x00,0x07]
// W64-ERR: :[[@LINE-2]]:1: error: instruction requires wavesize=32

v_dual_min_num_f64 v[254:255], vcc, v[4:5] :: v_dual_subrev_f32 v7, exec_hi, v3
// GFX1250: v_dual_min_num_f64 v[254:255], vcc, v[4:5] :: v_dual_subrev_f32 v7, exec_hi, v3 ; encoding: [0x6a,0x60,0x90,0xcf,0x7f,0x00,0x04,0x00,0xfe,0x03,0x00,0x07]
// W64-ERR: :[[@LINE-2]]:1: error: instruction requires wavesize=32

v_dual_min_num_f64 v[254:255], src_scc, v[4:5] :: v_dual_subrev_f32 v7, -1, v3
// GFX1250: v_dual_min_num_f64 v[254:255], src_scc, v[4:5] :: v_dual_subrev_f32 v7, -1, v3 ; encoding: [0xfd,0x60,0x90,0xcf,0xc1,0x00,0x04,0x00,0xfe,0x03,0x00,0x07]
// W64-ERR: :[[@LINE-2]]:1: error: instruction requires wavesize=32

v_dual_min_num_f64 v[254:255], 0.5, v[8:9] :: v_dual_subrev_f32 v7, 0.5, v2
// GFX1250: v_dual_min_num_f64 v[254:255], 0.5, v[8:9] :: v_dual_subrev_f32 v7, 0.5, v2 ; encoding: [0xf0,0x60,0x90,0xcf,0xf0,0x00,0x08,0x00,0xfe,0x02,0x00,0x07]
// W64-ERR: :[[@LINE-2]]:1: error: instruction requires wavesize=32

v_dual_min_num_f64 v[254:255], -1, v[6:7] :: v_dual_subrev_f32 v7, src_scc, v5
// GFX1250: v_dual_min_num_f64 v[254:255], -1, v[6:7] :: v_dual_subrev_f32 v7, src_scc, v5 ; encoding: [0xc1,0x60,0x90,0xcf,0xfd,0x00,0x06,0x00,0xfe,0x05,0x00,0x07]
// W64-ERR: :[[@LINE-2]]:1: error: instruction requires wavesize=32

v_dual_min_num_f64 v[2:3], v[6:7], v[4:5] :: v_dual_fma_f32 v9, v1, v14, v4
// GFX1250: v_dual_min_num_f64 v[2:3], v[6:7], v[4:5] :: v_dual_fma_f32 v9, v1, v14, v4 ; encoding: [0x06,0x31,0x91,0xcf,0x01,0x01,0x04,0x00,0x02,0x0e,0x04,0x09]
// W64-ERR: :[[@LINE-2]]:1: error: instruction requires wavesize=32

v_dual_min_num_f64 v[2:3], v[6:7], v[4:5] :: v_dual_sub_nc_u32 v9, v1, v14
// GFX1250: v_dual_min_num_f64 v[2:3], v[6:7], v[4:5] :: v_dual_sub_nc_u32 v9, v1, v14 ; encoding: [0x06,0x41,0x91,0xcf,0x01,0x01,0x04,0x00,0x02,0x0e,0x00,0x09]
// W64-ERR: :[[@LINE-2]]:1: error: instruction requires wavesize=32

v_dual_min_num_f64 v[2:3], v[6:7], v[4:5] :: v_dual_lshrrev_b32 v9, v1, v14
// GFX1250: v_dual_min_num_f64 v[2:3], v[6:7], v[4:5] :: v_dual_lshrrev_b32 v9, v1, v14 ; encoding: [0x06,0x51,0x91,0xcf,0x01,0x01,0x04,0x00,0x02,0x0e,0x00,0x09]
// W64-ERR: :[[@LINE-2]]:1: error: instruction requires wavesize=32

v_dual_min_num_f64 v[2:3], v[6:7], v[4:5] :: v_dual_ashrrev_i32 v9, v1, v14
// GFX1250: v_dual_min_num_f64 v[2:3], v[6:7], v[4:5] :: v_dual_ashrrev_i32 v9, v1, v14 ; encoding: [0x06,0x61,0x91,0xcf,0x01,0x01,0x04,0x00,0x02,0x0e,0x00,0x09]
// W64-ERR: :[[@LINE-2]]:1: error: instruction requires wavesize=32

v_dual_min_num_f64 v[2:3], v[6:7], v[4:5] :: v_dual_bitop2_b32 v7, v1, v3 bitop3:0x95
// GFX1250: v_dual_min_num_f64 v[2:3], v[6:7], v[4:5] :: v_dual_bitop2_b32 v7, v1, v3 bitop3:0x95 ; encoding: [0x06,0x21,0x91,0xcf,0x01,0x01,0x04,0x00,0x02,0x03,0x95,0x07]
// W64-ERR: :[[@LINE-2]]:1: error: instruction requires wavesize=32

//===----------------------------------------------------------------------===//
// Neg modifiers support.
//===----------------------------------------------------------------------===//

v_dual_fma_f32 v0, -v1, v2, v3 :: v_dual_fma_f32 v5, v6, v7, v8
// GFX1250: v_dual_fma_f32 v0, -v1, v2, v3 :: v_dual_fma_f32 v5, v6, v7, v8 ; encoding: [0x01,0x31,0x4d,0xcf,0x06,0x03,0x02,0x03,0x00,0x07,0x08,0x05]
// W64-ERR: :[[@LINE-2]]:1: error: instruction requires wavesize=32

v_dual_fma_f32 v0, v1, -v2, v3 :: v_dual_fma_f32 v5, v6, v7, v8
// GFX1250: v_dual_fma_f32 v0, v1, -v2, v3 :: v_dual_fma_f32 v5, v6, v7, v8 ; encoding: [0x01,0x31,0x4d,0xcf,0x06,0x05,0x02,0x03,0x00,0x07,0x08,0x05]
// W64-ERR: :[[@LINE-2]]:1: error: instruction requires wavesize=32

v_dual_fma_f32 v0, v1, v2, -v3 :: v_dual_fma_f32 v5, v6, v7, v8
// GFX1250: v_dual_fma_f32 v0, v1, v2, -v3 :: v_dual_fma_f32 v5, v6, v7, v8 ; encoding: [0x01,0x31,0x4d,0xcf,0x06,0x09,0x02,0x03,0x00,0x07,0x08,0x05]
// W64-ERR: :[[@LINE-2]]:1: error: instruction requires wavesize=32

v_dual_fma_f32 v0, v1, v2, v3 :: v_dual_fma_f32 v5, -v6, v7, v8
// GFX1250: v_dual_fma_f32 v0, v1, v2, v3 :: v_dual_fma_f32 v5, -v6, v7, v8 ; encoding: [0x01,0x31,0x4d,0xcf,0x06,0x11,0x02,0x03,0x00,0x07,0x08,0x05]
// W64-ERR: :[[@LINE-2]]:1: error: instruction requires wavesize=32

v_dual_fma_f32 v0, v1, v2, v3 :: v_dual_fma_f32 v5, v6, -v7, v8
// GFX1250: v_dual_fma_f32 v0, v1, v2, v3 :: v_dual_fma_f32 v5, v6, -v7, v8 ; encoding: [0x01,0x31,0x4d,0xcf,0x06,0x21,0x02,0x03,0x00,0x07,0x08,0x05]
// W64-ERR: :[[@LINE-2]]:1: error: instruction requires wavesize=32

v_dual_fma_f32 v0, v1, v2, v3 :: v_dual_fma_f32 v5, v6, v7, -v8
// GFX1250: v_dual_fma_f32 v0, v1, v2, v3 :: v_dual_fma_f32 v5, v6, v7, -v8 ; encoding: [0x01,0x31,0x4d,0xcf,0x06,0x41,0x02,0x03,0x00,0x07,0x08,0x05]
// W64-ERR: :[[@LINE-2]]:1: error: instruction requires wavesize=32

v_dual_fma_f32 v0, -s1, v2, v3 :: v_dual_bitop2_b32 v5, v6, v7
// GFX1250: v_dual_fma_f32 v0, -s1, v2, v3 :: v_dual_bitop2_b32 v5, v6, v7 ; encoding: [0x01,0x20,0x4d,0xcf,0x06,0x03,0x02,0x03,0x00,0x07,0x00,0x05]
// W64-ERR: :[[@LINE-2]]:1: error: instruction requires wavesize=32

v_dual_add_f32 v0, v1, v2 :: v_dual_add_f32 v5, -s6, v7
// GFX1250: v_dual_add_f32 v0, v1, v2 :: v_dual_add_f32 v5, -s6, v7 ; encoding: [0x01,0x41,0x10,0xcf,0x06,0x10,0x02,0x00,0x00,0x07,0x00,0x05]
// W64-ERR: :[[@LINE-2]]:1: error: instruction requires wavesize=32

v_dual_add_f32 v0, -v1, v2 :: v_dual_add_nc_u32 v5, v6, v7
// GFX1250: v_dual_add_f32 v0, -v1, v2 :: v_dual_add_nc_u32 v5, v6, v7 ; encoding: [0x01,0x01,0x11,0xcf,0x06,0x03,0x02,0x00,0x00,0x07,0x00,0x05]
// W64-ERR: :[[@LINE-2]]:1: error: instruction requires wavesize=32

v_dual_cndmask_b32 v0, v1, v2, vcc_lo :: v_dual_fmac_f32 v5, -v6, -v7
// GFX1250: v_dual_cndmask_b32 v0, v1, v2, vcc_lo :: v_dual_fmac_f32 v5, -v6, -v7 ; encoding: [0x01,0x01,0x24,0xcf,0x06,0x31,0x02,0x6a,0x00,0x07,0x00,0x05]
// W64-ERR: :[[@LINE-2]]:1: error: instruction requires wavesize=32

v_dual_fmac_f32 v0, -v1, -v2 :: v_dual_ashrrev_i32 v5, v6, v7
// GFX1250: v_dual_fmac_f32 v0, -v1, -v2 :: v_dual_ashrrev_i32 v5, v6, v7 ; encoding: [0x01,0x61,0x01,0xcf,0x06,0x07,0x02,0x00,0x00,0x07,0x00,0x05]
// W64-ERR: :[[@LINE-2]]:1: error: instruction requires wavesize=32

v_dual_fmac_f32 v0, v1, -v2 :: v_dual_fmac_f32 v5, -v6, v7
// GFX1250: v_dual_fmac_f32 v0, v1, -v2 :: v_dual_fmac_f32 v5, -v6, v7 ; encoding: [0x01,0x01,0x00,0xcf,0x06,0x15,0x02,0x00,0x00,0x07,0x00,0x05]
// W64-ERR: :[[@LINE-2]]:1: error: instruction requires wavesize=32

v_dual_max_num_f32 v0, v1, -v2 :: v_dual_cndmask_b32 v5, v6, v7, vcc_lo
// GFX1250: v_dual_max_num_f32 v0, v1, -v2 :: v_dual_cndmask_b32 v5, v6, v7, vcc_lo ; encoding: [0x01,0x91,0x28,0xcf,0x06,0x05,0x02,0x00,0x00,0x07,0x6a,0x05]
// W64-ERR: :[[@LINE-2]]:1: error: instruction requires wavesize=32

v_dual_max_num_f32 v0, -v1, v2 :: v_dual_min_num_f32 v5, v6, v7
// GFX1250: v_dual_max_num_f32 v0, -v1, v2 :: v_dual_min_num_f32 v5, v6, v7 ; encoding: [0x01,0xb1,0x28,0xcf,0x06,0x03,0x02,0x00,0x00,0x07,0x00,0x05]
// W64-ERR: :[[@LINE-2]]:1: error: instruction requires wavesize=32

v_dual_mov_b32 v0, v1 :: v_dual_max_num_f32 v5, -s6, -v7
// GFX1250: v_dual_mov_b32 v0, v1 :: v_dual_max_num_f32 v5, -s6, -v7 ; encoding: [0x01,0xa1,0x20,0xcf,0x06,0x30,0x00,0x00,0x00,0x07,0x00,0x05]
// W64-ERR: :[[@LINE-2]]:1: error: instruction requires wavesize=32

v_dual_mul_dx9_zero_f32 v0, -v1, v2 :: v_dual_lshlrev_b32 v5, v6, v7
// GFX1250: v_dual_mul_dx9_zero_f32 v0, -v1, v2 :: v_dual_lshlrev_b32 v5, v6, v7 ; encoding: [0x01,0x11,0x1d,0xcf,0x06,0x03,0x02,0x00,0x00,0x07,0x00,0x05]
// W64-ERR: :[[@LINE-2]]:1: error: instruction requires wavesize=32

v_dual_mul_dx9_zero_f32 v0, v1, -v2 :: v_dual_mul_f32 v5, v6, -v7
// GFX1250: v_dual_mul_dx9_zero_f32 v0, v1, -v2 :: v_dual_mul_f32 v5, v6, -v7 ; encoding: [0x01,0x31,0x1c,0xcf,0x06,0x25,0x02,0x00,0x00,0x07,0x00,0x05]
// W64-ERR: :[[@LINE-2]]:1: error: instruction requires wavesize=32

v_dual_mul_f32 v0, -v1, -v2 :: v_dual_lshrrev_b32 v5, v6, v7
// GFX1250: v_dual_mul_f32 v0, -v1, -v2 :: v_dual_lshrrev_b32 v5, v6, v7 ; encoding: [0x01,0x51,0x0d,0xcf,0x06,0x07,0x02,0x00,0x00,0x07,0x00,0x05]
// W64-ERR: :[[@LINE-2]]:1: error: instruction requires wavesize=32

v_dual_mul_f32 v0, v1, v2 :: v_dual_mul_dx9_zero_f32 v5, -v6, -v7
// GFX1250: v_dual_mul_f32 v0, v1, v2 :: v_dual_mul_dx9_zero_f32 v5, -v6, -v7 ; encoding: [0x01,0x71,0x0c,0xcf,0x06,0x31,0x02,0x00,0x00,0x07,0x00,0x05]
// W64-ERR: :[[@LINE-2]]:1: error: instruction requires wavesize=32

v_dual_sub_f32 v0, v1, -v2 :: v_dual_max_i32 v5, v6, v7
// GFX1250: v_dual_sub_f32 v0, v1, -v2 :: v_dual_max_i32 v5, v6, v7 ; encoding: [0x01,0x71,0x15,0xcf,0x06,0x05,0x02,0x00,0x00,0x07,0x00,0x05]
// W64-ERR: :[[@LINE-2]]:1: error: instruction requires wavesize=32

v_dual_sub_f32 v0, -v1, v2 :: v_dual_mul_f32 v5, -v6, -v7
// GFX1250: v_dual_sub_f32 v0, -v1, v2 :: v_dual_mul_f32 v5, -v6, -v7 ; encoding: [0x01,0x31,0x14,0xcf,0x06,0x33,0x02,0x00,0x00,0x07,0x00,0x05]
// W64-ERR: :[[@LINE-2]]:1: error: instruction requires wavesize=32

v_dual_subrev_f32 v0, v1, -v2 :: v_dual_min_i32 v5, v6, v7
// GFX1250: v_dual_subrev_f32 v0, v1, -v2 :: v_dual_min_i32 v5, v6, v7 ; encoding: [0x01,0x81,0x19,0xcf,0x06,0x05,0x02,0x00,0x00,0x07,0x00,0x05]
// W64-ERR: :[[@LINE-2]]:1: error: instruction requires wavesize=32

v_dual_subrev_f32 v0, v1, -v2 :: v_dual_sub_f32 v5, -v6, v7
// GFX1250: v_dual_subrev_f32 v0, v1, -v2 :: v_dual_sub_f32 v5, -v6, v7 ; encoding: [0x01,0x51,0x18,0xcf,0x06,0x15,0x02,0x00,0x00,0x07,0x00,0x05]
// W64-ERR: :[[@LINE-2]]:1: error: instruction requires wavesize=32

v_dual_add_f64 v[0:1], -v[8:9], v[4:5] :: v_dual_mov_b32 v5, v6
// GFX1250: v_dual_add_f64 v[0:1], -v[8:9], v[4:5] :: v_dual_mov_b32 v5, v6 ; encoding: [0x08,0x81,0x84,0xcf,0x06,0x03,0x04,0x00,0x00,0x00,0x00,0x05]
// W64-ERR: :[[@LINE-2]]:1: error: instruction requires wavesize=32

v_dual_add_f64 v[0:1], -s[8:9], -v[4:5] :: v_dual_subrev_f32 v5, v6, -v7
// GFX1250: v_dual_add_f64 v[0:1], -s[8:9], -v[4:5] :: v_dual_subrev_f32 v5, v6, -v7 ; encoding: [0x08,0x60,0x84,0xcf,0x06,0x27,0x04,0x00,0x00,0x07,0x00,0x05]
// W64-ERR: :[[@LINE-2]]:1: error: instruction requires wavesize=32

v_dual_add_nc_u32 v0, v1, v2 :: v_dual_fma_f32 v5, -v6, v7, -v8
// GFX1250: v_dual_add_nc_u32 v0, v1, v2 :: v_dual_fma_f32 v5, -v6, v7, -v8 ; encoding: [0x01,0x31,0x41,0xcf,0x06,0x51,0x02,0x00,0x00,0x07,0x08,0x05]
// W64-ERR: :[[@LINE-2]]:1: error: instruction requires wavesize=32

v_dual_cndmask_b32 v0, v1, v2, vcc_lo :: v_dual_add_f32 v5, -s6, -v7
// GFX1250: v_dual_cndmask_b32 v0, v1, v2, vcc_lo :: v_dual_add_f32 v5, -s6, -v7 ; encoding: [0x01,0x41,0x24,0xcf,0x06,0x30,0x02,0x6a,0x00,0x07,0x00,0x05]
// W64-ERR: :[[@LINE-2]]:1: error: instruction requires wavesize=32

v_dual_fma_f64 v[0:1], -v[8:9], -v[4:5], -v[10:11] :: v_dual_add_nc_u32 v5, v6, v7
// GFX1250: v_dual_fma_f64 v[0:1], -v[8:9], -v[4:5], -v[10:11] :: v_dual_add_nc_u32 v5, v6, v7 ; encoding: [0x08,0x01,0x81,0xcf,0x06,0x0f,0x04,0x0a,0x00,0x07,0x00,0x05]
// W64-ERR: :[[@LINE-2]]:1: error: instruction requires wavesize=32

v_dual_fma_f64 v[0:1], v[8:9], v[4:5], -v[10:11] :: v_dual_fma_f32 v5, v6, v7, -v8
// GFX1250: v_dual_fma_f64 v[0:1], v[8:9], v[4:5], -v[10:11] :: v_dual_fma_f32 v5, v6, v7, -v8 ; encoding: [0x08,0x31,0x81,0xcf,0x06,0x49,0x04,0x0a,0x00,0x07,0x08,0x05]
// W64-ERR: :[[@LINE-2]]:1: error: instruction requires wavesize=32

v_dual_lshlrev_b32 v0, v1, v2 :: v_dual_min_num_f32 v5, -s6, -v7
// GFX1250: v_dual_lshlrev_b32 v0, v1, v2 :: v_dual_min_num_f32 v5, -s6, -v7 ; encoding: [0x01,0xb1,0x44,0xcf,0x06,0x30,0x02,0x00,0x00,0x07,0x00,0x05]
// W64-ERR: :[[@LINE-2]]:1: error: instruction requires wavesize=32

v_dual_max_num_f32 v0, v1, -v2 :: v_dual_mov_b32 v5, v6
// GFX1250: v_dual_max_num_f32 v0, v1, -v2 :: v_dual_mov_b32 v5, v6 ; encoding: [0x01,0x81,0x28,0xcf,0x06,0x05,0x02,0x00,0x00,0x00,0x00,0x05]
// W64-ERR: :[[@LINE-2]]:1: error: instruction requires wavesize=32

v_dual_max_num_f32 v0, -v1, v2 :: v_dual_mul_dx9_zero_f32 v5, -v6, -v7
// GFX1250: v_dual_max_num_f32 v0, -v1, v2 :: v_dual_mul_dx9_zero_f32 v5, -v6, -v7 ; encoding: [0x01,0x71,0x28,0xcf,0x06,0x33,0x02,0x00,0x00,0x07,0x00,0x05]
// W64-ERR: :[[@LINE-2]]:1: error: instruction requires wavesize=32

v_dual_max_num_f64 v[0:1], -v[8:9], -v[4:5] :: v_dual_mul_f32 v5, -v6, v7
// GFX1250: v_dual_max_num_f64 v[0:1], -v[8:9], -v[4:5] :: v_dual_mul_f32 v5, -v6, v7 ; encoding: [0x08,0x31,0x8c,0xcf,0x06,0x17,0x04,0x00,0x00,0x07,0x00,0x05]
// W64-ERR: :[[@LINE-2]]:1: error: instruction requires wavesize=32

v_dual_max_num_f64 v[0:1], v[8:9], -v[4:5] :: v_dual_sub_nc_u32 v5, v6, v7
// GFX1250: v_dual_max_num_f64 v[0:1], v[8:9], -v[4:5] :: v_dual_sub_nc_u32 v5, v6, v7 ; encoding: [0x08,0x41,0x8d,0xcf,0x06,0x05,0x04,0x00,0x00,0x07,0x00,0x05]
// W64-ERR: :[[@LINE-2]]:1: error: instruction requires wavesize=32

v_dual_min_num_f32 v0, v1, -v2 :: v_dual_add_nc_u32 v5, v6, v7
// GFX1250: v_dual_min_num_f32 v0, v1, -v2 :: v_dual_add_nc_u32 v5, v6, v7 ; encoding: [0x01,0x01,0x2d,0xcf,0x06,0x05,0x02,0x00,0x00,0x07,0x00,0x05]
// W64-ERR: :[[@LINE-2]]:1: error: instruction requires wavesize=32

v_dual_min_num_f32 v0, -v1, v2 :: v_dual_sub_f32 v5, -v6, -v7
// GFX1250: v_dual_min_num_f32 v0, -v1, v2 :: v_dual_sub_f32 v5, -v6, -v7 ; encoding: [0x01,0x51,0x2c,0xcf,0x06,0x33,0x02,0x00,0x00,0x07,0x00,0x05]
// W64-ERR: :[[@LINE-2]]:1: error: instruction requires wavesize=32

v_dual_min_num_f64 v[0:1], -s[8:9], v[4:5] :: v_dual_ashrrev_i32 v5, v6, v7
// GFX1250: v_dual_min_num_f64 v[0:1], -s[8:9], v[4:5] :: v_dual_ashrrev_i32 v5, v6, v7 ; encoding: [0x08,0x60,0x91,0xcf,0x06,0x03,0x04,0x00,0x00,0x07,0x00,0x05]
// W64-ERR: :[[@LINE-2]]:1: error: instruction requires wavesize=32

v_dual_min_num_f64 v[0:1], -v[8:9], -v[4:5] :: v_dual_subrev_f32 v5, v6, v7
// GFX1250: v_dual_min_num_f64 v[0:1], -v[8:9], -v[4:5] :: v_dual_subrev_f32 v5, v6, v7 ; encoding: [0x08,0x61,0x90,0xcf,0x06,0x07,0x04,0x00,0x00,0x07,0x00,0x05]
// W64-ERR: :[[@LINE-2]]:1: error: instruction requires wavesize=32

v_dual_mul_dx9_zero_f32 v0, v1, -v2 :: v_dual_bitop2_b32 v5, v6, v7 bitop3:1
// GFX1250: v_dual_mul_dx9_zero_f32 v0, v1, -v2 :: v_dual_bitop2_b32 v5, v6, v7 bitop3:1 ; encoding: [0x01,0x21,0x1d,0xcf,0x06,0x05,0x02,0x00,0x00,0x07,0x01,0x05]
// W64-ERR: :[[@LINE-2]]:1: error: instruction requires wavesize=32

v_dual_mul_dx9_zero_f32 v0, -v1, v2 :: v_dual_fma_f32 v5, -s6, -v7, -v8
// GFX1250: v_dual_mul_dx9_zero_f32 v0, -v1, v2 :: v_dual_fma_f32 v5, -s6, -v7, -v8 ; encoding: [0x01,0x31,0x1d,0xcf,0x06,0x72,0x02,0x00,0x00,0x07,0x08,0x05]
// W64-ERR: :[[@LINE-2]]:1: error: instruction requires wavesize=32

v_dual_mul_f32 v0, -v1, -v2 :: v_dual_bitop2_b32 v5, v6, v7 bitop3:100
// GFX1250: v_dual_mul_f32 v0, -v1, -v2 :: v_dual_bitop2_b32 v5, v6, v7 bitop3:0x64 ; encoding: [0x01,0x21,0x0d,0xcf,0x06,0x07,0x02,0x00,0x00,0x07,0x64,0x05]
// W64-ERR: :[[@LINE-2]]:1: error: instruction requires wavesize=32

v_dual_mul_f32 v0, v1, v2 :: v_dual_fmac_f32 v5, -v6, -v7
// GFX1250: v_dual_mul_f32 v0, v1, v2 :: v_dual_fmac_f32 v5, -v6, -v7 ; encoding: [0x01,0x01,0x0c,0xcf,0x06,0x31,0x02,0x00,0x00,0x07,0x00,0x05]
// W64-ERR: :[[@LINE-2]]:1: error: instruction requires wavesize=32

v_dual_mul_f64 v[0:1], -v[8:9], v[4:5] :: v_dual_add_f32 v5, -v6, v7
// GFX1250: v_dual_mul_f64 v[0:1], -v[8:9], v[4:5] :: v_dual_add_f32 v5, -v6, v7 ; encoding: [0x08,0x41,0x88,0xcf,0x06,0x13,0x04,0x00,0x00,0x07,0x00,0x05]
// W64-ERR: :[[@LINE-2]]:1: error: instruction requires wavesize=32

v_dual_mul_f64 v[0:1], v[8:9], -v[4:5] :: v_dual_lshlrev_b32 v5, v6, v7
// GFX1250: v_dual_mul_f64 v[0:1], v[8:9], -v[4:5] :: v_dual_lshlrev_b32 v5, v6, v7 ; encoding: [0x08,0x11,0x89,0xcf,0x06,0x05,0x04,0x00,0x00,0x07,0x00,0x05]
// W64-ERR: :[[@LINE-2]]:1: error: instruction requires wavesize=32

v_dual_sub_f32 v0, -v1, -v2 :: v_dual_lshrrev_b32 v5, v6, v7
// GFX1250: v_dual_sub_f32 v0, -v1, -v2 :: v_dual_lshrrev_b32 v5, v6, v7 ; encoding: [0x01,0x51,0x15,0xcf,0x06,0x07,0x02,0x00,0x00,0x07,0x00,0x05]
// W64-ERR: :[[@LINE-2]]:1: error: instruction requires wavesize=32

v_dual_sub_f32 v0, v1, v2 :: v_dual_min_num_f32 v5, v6, -v7
// GFX1250: v_dual_sub_f32 v0, v1, v2 :: v_dual_min_num_f32 v5, v6, -v7 ; encoding: [0x01,0xb1,0x14,0xcf,0x06,0x21,0x02,0x00,0x00,0x07,0x00,0x05]
// W64-ERR: :[[@LINE-2]]:1: error: instruction requires wavesize=32

v_dual_sub_nc_u32 v0, v1, v2 :: v_dual_mul_dx9_zero_f32 v5, v6, v7
// GFX1250: v_dual_sub_nc_u32 v0, v1, v2 :: v_dual_mul_dx9_zero_f32 v5, v6, v7 ; encoding: [0x01,0x71,0x50,0xcf,0x06,0x01,0x02,0x00,0x00,0x07,0x00,0x05]
// W64-ERR: :[[@LINE-2]]:1: error: instruction requires wavesize=32

v_dual_subrev_f32 v0, v1, -v2 :: v_dual_max_i32 v5, v6, v7
// GFX1250: v_dual_subrev_f32 v0, v1, -v2 :: v_dual_max_i32 v5, v6, v7 ; encoding: [0x01,0x71,0x19,0xcf,0x06,0x05,0x02,0x00,0x00,0x07,0x00,0x05]
// W64-ERR: :[[@LINE-2]]:1: error: instruction requires wavesize=32

v_dual_subrev_f32 v0, -s1, -v2 :: v_dual_mul_f32 v5, -s6, -v7
// GFX1250: v_dual_subrev_f32 v0, -s1, -v2 :: v_dual_mul_f32 v5, -s6, -v7 ; encoding: [0x01,0x30,0x18,0xcf,0x06,0x36,0x02,0x00,0x00,0x07,0x00,0x05]
// W64-ERR: :[[@LINE-2]]:1: error: instruction requires wavesize=32

v_dual_add_f32 v255, v4, v2 :: v_dual_cndmask_b32 v7, v1, v3, s96
// GFX1250: v_dual_add_f32 v255, v4, v2 :: v_dual_cndmask_b32 v7, v1, v3, s96 ; encoding: [0x04,0x91,0x10,0xcf,0x01,0x01,0x02,0x00,0xff,0x03,0x60,0x07]
// W64-ERR: :[[@LINE-2]]:1: error: instruction requires wavesize=32

v_dual_cndmask_b32 v255, v4, v2, s96 :: v_dual_add_f32 v7, v1, v3
// GFX1250: v_dual_cndmask_b32 v255, v4, v2, s96 :: v_dual_add_f32 v7, v1, v3 ; encoding: [0x04,0x41,0x24,0xcf,0x01,0x01,0x02,0x60,0xff,0x03,0x00,0x07]
// W64-ERR: :[[@LINE-2]]:1: error: instruction requires wavesize=32

v_dual_cndmask_b32 v255, v4, v2, s96 :: v_dual_add_nc_u32 v7, v1, v3
// GFX1250: v_dual_cndmask_b32 v255, v4, v2, s96 :: v_dual_add_nc_u32 v7, v1, v3 ; encoding: [0x04,0x01,0x25,0xcf,0x01,0x01,0x02,0x60,0xff,0x03,0x00,0x07]
// W64-ERR: :[[@LINE-2]]:1: error: instruction requires wavesize=32

v_dual_cndmask_b32 v255, v4, v2, s97 :: v_dual_cndmask_b32 v7, v1, v3, s96
// GFX1250: v_dual_cndmask_b32 v255, v4, v2, s97 :: v_dual_cndmask_b32 v7, v1, v3, s96 ; encoding: [0x04,0x91,0x24,0xcf,0x01,0x01,0x02,0x61,0xff,0x03,0x60,0x07]
// W64-ERR: :[[@LINE-2]]:1: error: instruction requires wavesize=32

v_dual_cndmask_b32 v255, v4, v2, s96 :: v_dual_fmac_f32 v7, v1, v3
// GFX1250: v_dual_cndmask_b32 v255, v4, v2, s96 :: v_dual_fmac_f32 v7, v1, v3 ; encoding: [0x04,0x01,0x24,0xcf,0x01,0x01,0x02,0x60,0xff,0x03,0x00,0x07]
// W64-ERR: :[[@LINE-2]]:1: error: instruction requires wavesize=32

v_dual_cndmask_b32 v255, v4, v2, s96 :: v_dual_lshlrev_b32 v7, v1, v3
// GFX1250: v_dual_cndmask_b32 v255, v4, v2, s96 :: v_dual_lshlrev_b32 v7, v1, v3 ; encoding: [0x04,0x11,0x25,0xcf,0x01,0x01,0x02,0x60,0xff,0x03,0x00,0x07]
// W64-ERR: :[[@LINE-2]]:1: error: instruction requires wavesize=32

v_dual_cndmask_b32 v255, v4, v2, s96 :: v_dual_max_num_f32 v7, v1, v3
// GFX1250: v_dual_cndmask_b32 v255, v4, v2, s96 :: v_dual_max_num_f32 v7, v1, v3 ; encoding: [0x04,0xa1,0x24,0xcf,0x01,0x01,0x02,0x60,0xff,0x03,0x00,0x07]
// W64-ERR: :[[@LINE-2]]:1: error: instruction requires wavesize=32

v_dual_cndmask_b32 v255, v4, v2, s96 :: v_dual_min_num_f32 v7, v1, v3
// GFX1250: v_dual_cndmask_b32 v255, v4, v2, s96 :: v_dual_min_num_f32 v7, v1, v3 ; encoding: [0x04,0xb1,0x24,0xcf,0x01,0x01,0x02,0x60,0xff,0x03,0x00,0x07]
// W64-ERR: :[[@LINE-2]]:1: error: instruction requires wavesize=32

v_dual_cndmask_b32 v255, v4, v255, s96 :: v_dual_mov_b32 v7, v1
// GFX1250: v_dual_cndmask_b32 v255, v4, v255, s96 :: v_dual_mov_b32 v7, v1 ; encoding: [0x04,0x81,0x24,0xcf,0x01,0x01,0xff,0x60,0xff,0x00,0x00,0x07]
// W64-ERR: :[[@LINE-2]]:1: error: instruction requires wavesize=32

v_dual_cndmask_b32 v255, v4, v2, s96 :: v_dual_mul_dx9_zero_f32 v7, v1, v3
// GFX1250: v_dual_cndmask_b32 v255, v4, v2, s96 :: v_dual_mul_dx9_zero_f32 v7, v1, v3 ; encoding: [0x04,0x71,0x24,0xcf,0x01,0x01,0x02,0x60,0xff,0x03,0x00,0x07]
// W64-ERR: :[[@LINE-2]]:1: error: instruction requires wavesize=32

v_dual_cndmask_b32 v255, v4, v2, s96 :: v_dual_mul_f32 v7, v1, v3
// GFX1250: v_dual_cndmask_b32 v255, v4, v2, s96 :: v_dual_mul_f32 v7, v1, v3 ; encoding: [0x04,0x31,0x24,0xcf,0x01,0x01,0x02,0x60,0xff,0x03,0x00,0x07]
// W64-ERR: :[[@LINE-2]]:1: error: instruction requires wavesize=32

v_dual_cndmask_b32 v255, v4, v2, s96 :: v_dual_sub_f32 v7, v1, v3
// GFX1250: v_dual_cndmask_b32 v255, v4, v2, s96 :: v_dual_sub_f32 v7, v1, v3 ; encoding: [0x04,0x51,0x24,0xcf,0x01,0x01,0x02,0x60,0xff,0x03,0x00,0x07]
// W64-ERR: :[[@LINE-2]]:1: error: instruction requires wavesize=32

v_dual_cndmask_b32 v255, v4, v2, s96 :: v_dual_subrev_f32 v7, v1, v3
// GFX1250: v_dual_cndmask_b32 v255, v4, v2, s96 :: v_dual_subrev_f32 v7, v1, v3 ; encoding: [0x04,0x61,0x24,0xcf,0x01,0x01,0x02,0x60,0xff,0x03,0x00,0x07]
// W64-ERR: :[[@LINE-2]]:1: error: instruction requires wavesize=32

v_dual_cndmask_b32 v255, v4, v2, s96 :: v_dual_fma_f32 v7, v1, v3, v4
// GFX1250: v_dual_cndmask_b32 v255, v4, v2, s96 :: v_dual_fma_f32 v7, v1, v3, v4 ; encoding: [0x04,0x31,0x25,0xcf,0x01,0x01,0x02,0x60,0xff,0x03,0x04,0x07]
// W64-ERR: :[[@LINE-2]]:1: error: instruction requires wavesize=32

v_dual_cndmask_b32 v255, v4, v2, s96 :: v_dual_bitop2_b32 v7, v1, v3 bitop3:1
// GFX1250: v_dual_cndmask_b32 v255, v4, v2, s96 :: v_dual_bitop2_b32 v7, v1, v3 bitop3:1 ; encoding: [0x04,0x21,0x25,0xcf,0x01,0x01,0x02,0x60,0xff,0x03,0x01,0x07]
// W64-ERR: :[[@LINE-2]]:1: error: instruction requires wavesize=32

v_dual_fmac_f32 v255, v4, v2 :: v_dual_cndmask_b32 v7, v1, v3, s96
// GFX1250: v_dual_fmac_f32 v255, v4, v2 :: v_dual_cndmask_b32 v7, v1, v3, s96 ; encoding: [0x04,0x91,0x00,0xcf,0x01,0x01,0x02,0x00,0xff,0x03,0x60,0x07]
// W64-ERR: :[[@LINE-2]]:1: error: instruction requires wavesize=32

v_dual_max_num_f32 v255, v4, v2 :: v_dual_cndmask_b32 v7, v1, v3, s96
// GFX1250: v_dual_max_num_f32 v255, v4, v2 :: v_dual_cndmask_b32 v7, v1, v3, s96 ; encoding: [0x04,0x91,0x28,0xcf,0x01,0x01,0x02,0x00,0xff,0x03,0x60,0x07]
// W64-ERR: :[[@LINE-2]]:1: error: instruction requires wavesize=32

v_dual_min_num_f32 v255, v4, v2 :: v_dual_cndmask_b32 v7, v1, v3, s96
// GFX1250: v_dual_min_num_f32 v255, v4, v2 :: v_dual_cndmask_b32 v7, v1, v3, s96 ; encoding: [0x04,0x91,0x2c,0xcf,0x01,0x01,0x02,0x00,0xff,0x03,0x60,0x07]
// W64-ERR: :[[@LINE-2]]:1: error: instruction requires wavesize=32

v_dual_mov_b32 v255, v4 :: v_dual_cndmask_b32 v7, v1, v255, s96
// GFX1250: v_dual_mov_b32 v255, v4 :: v_dual_cndmask_b32 v7, v1, v255, s96 ; encoding: [0x04,0x91,0x20,0xcf,0x01,0x01,0x00,0x00,0xff,0xff,0x60,0x07]
// W64-ERR: :[[@LINE-2]]:1: error: instruction requires wavesize=32

v_dual_mul_dx9_zero_f32 v255, v4, v2 :: v_dual_cndmask_b32 v7, v1, v3, s96
// GFX1250: v_dual_mul_dx9_zero_f32 v255, v4, v2 :: v_dual_cndmask_b32 v7, v1, v3, s96 ; encoding: [0x04,0x91,0x1c,0xcf,0x01,0x01,0x02,0x00,0xff,0x03,0x60,0x07]
// W64-ERR: :[[@LINE-2]]:1: error: instruction requires wavesize=32

v_dual_mul_f32 v255, v4, v2 :: v_dual_cndmask_b32 v7, v1, v3, s96
// GFX1250: v_dual_mul_f32 v255, v4, v2 :: v_dual_cndmask_b32 v7, v1, v3, s96 ; encoding: [0x04,0x91,0x0c,0xcf,0x01,0x01,0x02,0x00,0xff,0x03,0x60,0x07]
// W64-ERR: :[[@LINE-2]]:1: error: instruction requires wavesize=32

v_dual_subrev_f32 v255, v4, v2 :: v_dual_cndmask_b32 v7, v1, v3, s96
// GFX1250: v_dual_subrev_f32 v255, v4, v2 :: v_dual_cndmask_b32 v7, v1, v3, s96 ; encoding: [0x04,0x91,0x18,0xcf,0x01,0x01,0x02,0x00,0xff,0x03,0x60,0x07]
// W64-ERR: :[[@LINE-2]]:1: error: instruction requires wavesize=32

v_dual_cndmask_b32 v255, v4, v2, s96 :: v_dual_max_i32 v7, v1, v3
// GFX1250: v_dual_cndmask_b32 v255, v4, v2, s96 :: v_dual_max_i32 v7, v1, v3 ; encoding: [0x04,0x71,0x25,0xcf,0x01,0x01,0x02,0x60,0xff,0x03,0x00,0x07]
// W64-ERR: :[[@LINE-2]]:1: error: instruction requires wavesize=32

v_dual_cndmask_b32 v255, v4, v2, s96 :: v_dual_min_i32 v7, v1, v3
// GFX1250: v_dual_cndmask_b32 v255, v4, v2, s96 :: v_dual_min_i32 v7, v1, v3 ; encoding: [0x04,0x81,0x25,0xcf,0x01,0x01,0x02,0x60,0xff,0x03,0x00,0x07]
// W64-ERR: :[[@LINE-2]]:1: error: instruction requires wavesize=32

v_dual_cndmask_b32 v255, v4, v2, s96 :: v_dual_sub_nc_u32 v7, v1, v3
// GFX1250: v_dual_cndmask_b32 v255, v4, v2, s96 :: v_dual_sub_nc_u32 v7, v1, v3 ; encoding: [0x04,0x41,0x25,0xcf,0x01,0x01,0x02,0x60,0xff,0x03,0x00,0x07]
// W64-ERR: :[[@LINE-2]]:1: error: instruction requires wavesize=32

v_dual_cndmask_b32 v255, v4, v2, s96 :: v_dual_lshrrev_b32 v7, v1, v3
// GFX1250: v_dual_cndmask_b32 v255, v4, v2, s96 :: v_dual_lshrrev_b32 v7, v1, v3 ; encoding: [0x04,0x51,0x25,0xcf,0x01,0x01,0x02,0x60,0xff,0x03,0x00,0x07]
// W64-ERR: :[[@LINE-2]]:1: error: instruction requires wavesize=32

v_dual_cndmask_b32 v255, v4, v2, s96 :: v_dual_ashrrev_i32 v7, v1, v3
// GFX1250: v_dual_cndmask_b32 v255, v4, v2, s96 :: v_dual_ashrrev_i32 v7, v1, v3 ; encoding: [0x04,0x61,0x25,0xcf,0x01,0x01,0x02,0x60,0xff,0x03,0x00,0x07]
// W64-ERR: :[[@LINE-2]]:1: error: instruction requires wavesize=32

v_dual_add_nc_u32 v255, v4, v2 :: v_dual_cndmask_b32 v7, v1, v3, s96
// GFX1250: v_dual_add_nc_u32 v255, v4, v2 :: v_dual_cndmask_b32 v7, v1, v3, s96 ; encoding: [0x04,0x91,0x40,0xcf,0x01,0x01,0x02,0x00,0xff,0x03,0x60,0x07]
// W64-ERR: :[[@LINE-2]]:1: error: instruction requires wavesize=32

v_dual_lshlrev_b32 v255, v4, v2 :: v_dual_cndmask_b32 v7, v1, v3, s96
// GFX1250: v_dual_lshlrev_b32 v255, v4, v2 :: v_dual_cndmask_b32 v7, v1, v3, s96 ; encoding: [0x04,0x91,0x44,0xcf,0x01,0x01,0x02,0x00,0xff,0x03,0x60,0x07]
// W64-ERR: :[[@LINE-2]]:1: error: instruction requires wavesize=32

v_dual_sub_nc_u32 v255, v4, v2 :: v_dual_cndmask_b32 v7, v1, v3, s96
// GFX1250: v_dual_sub_nc_u32 v255, v4, v2 :: v_dual_cndmask_b32 v7, v1, v3, s96 ; encoding: [0x04,0x91,0x50,0xcf,0x01,0x01,0x02,0x00,0xff,0x03,0x60,0x07]
// W64-ERR: :[[@LINE-2]]:1: error: instruction requires wavesize=32

v_dual_ashrrev_i32 v255, v4, v2 :: v_dual_cndmask_b32 v7, v1, v3, s96
// GFX1250: v_dual_ashrrev_i32 v255, v4, v2 :: v_dual_cndmask_b32 v7, v1, v3, s96 ; encoding: [0x04,0x91,0x58,0xcf,0x01,0x01,0x02,0x00,0xff,0x03,0x60,0x07]
// W64-ERR: :[[@LINE-2]]:1: error: instruction requires wavesize=32

v_dual_lshrrev_b32 v255, v4, v2 :: v_dual_cndmask_b32 v7, v1, v3, s96
// GFX1250: v_dual_lshrrev_b32 v255, v4, v2 :: v_dual_cndmask_b32 v7, v1, v3, s96 ; encoding: [0x04,0x91,0x54,0xcf,0x01,0x01,0x02,0x00,0xff,0x03,0x60,0x07]
// W64-ERR: :[[@LINE-2]]:1: error: instruction requires wavesize=32

v_dual_fma_f32 v255, v4, v2, v10 :: v_dual_cndmask_b32 v7, v1, v3, s96
// GFX1250: v_dual_fma_f32 v255, v4, v2, v10 :: v_dual_cndmask_b32 v7, v1, v3, s96 ; encoding: [0x04,0x91,0x4c,0xcf,0x01,0x01,0x02,0x0a,0xff,0x03,0x60,0x07]
// W64-ERR: :[[@LINE-2]]:1: error: instruction requires wavesize=32

v_dual_fma_f64 v[254:255], v[4:5], v[4:5], v[10:11] :: v_dual_cndmask_b32 v7, v2, v3, s96
// GFX1250: v_dual_fma_f64 v[254:255], v[4:5], v[4:5], v[10:11] :: v_dual_cndmask_b32 v7, v2, v3, s96 ; encoding: [0x04,0x91,0x80,0xcf,0x02,0x01,0x04,0x0a,0xfe,0x03,0x60,0x07]
// W64-ERR: :[[@LINE-2]]:1: error: instruction requires wavesize=32

v_dual_add_f64 v[254:255], v[4:5], v[4:5] :: v_dual_cndmask_b32 v7, v2, v3, s96
// GFX1250: v_dual_add_f64 v[254:255], v[4:5], v[4:5] :: v_dual_cndmask_b32 v7, v2, v3, s96 ; encoding: [0x04,0x91,0x84,0xcf,0x02,0x01,0x04,0x00,0xfe,0x03,0x60,0x07]
// W64-ERR: :[[@LINE-2]]:1: error: instruction requires wavesize=32

v_dual_mul_f64 v[254:255], v[4:5], v[4:5] :: v_dual_cndmask_b32 v7, v2, v3, s96
// GFX1250: v_dual_mul_f64 v[254:255], v[4:5], v[4:5] :: v_dual_cndmask_b32 v7, v2, v3, s96 ; encoding: [0x04,0x91,0x88,0xcf,0x02,0x01,0x04,0x00,0xfe,0x03,0x60,0x07]
// W64-ERR: :[[@LINE-2]]:1: error: instruction requires wavesize=32

v_dual_max_num_f64 v[254:255], v[4:5], v[4:5] :: v_dual_cndmask_b32 v7, v2, v3, s96
// GFX1250: v_dual_max_num_f64 v[254:255], v[4:5], v[4:5] :: v_dual_cndmask_b32 v7, v2, v3, s96 ; encoding: [0x04,0x91,0x8c,0xcf,0x02,0x01,0x04,0x00,0xfe,0x03,0x60,0x07]
// W64-ERR: :[[@LINE-2]]:1: error: instruction requires wavesize=32

v_dual_min_num_f64 v[254:255], v[4:5], v[4:5] :: v_dual_cndmask_b32 v7, v2, v3, s96
// GFX1250: v_dual_min_num_f64 v[254:255], v[4:5], v[4:5] :: v_dual_cndmask_b32 v7, v2, v3, s96 ; encoding: [0x04,0x91,0x90,0xcf,0x02,0x01,0x04,0x00,0xfe,0x03,0x60,0x07]
// W64-ERR: :[[@LINE-2]]:1: error: instruction requires wavesize=32

v_dual_cndmask_b32 v0, v1, v2, s96 :: v_dual_fmac_f32 v5, -v6, -v7
// GFX1250: v_dual_cndmask_b32 v0, v1, v2, s96 :: v_dual_fmac_f32 v5, -v6, -v7 ; encoding: [0x01,0x01,0x24,0xcf,0x06,0x31,0x02,0x60,0x00,0x07,0x00,0x05]
// W64-ERR: :[[@LINE-2]]:1: error: instruction requires wavesize=32

v_dual_max_num_f32 v0, v1, -v2 :: v_dual_cndmask_b32 v5, v6, v7, s96
// GFX1250: v_dual_max_num_f32 v0, v1, -v2 :: v_dual_cndmask_b32 v5, v6, v7, s96 ; encoding: [0x01,0x91,0x28,0xcf,0x06,0x05,0x02,0x00,0x00,0x07,0x60,0x05]
// W64-ERR: :[[@LINE-2]]:1: error: instruction requires wavesize=32

v_dual_cndmask_b32 v0, v1, v2, s96 :: v_dual_add_f32 v5, -s6, -v7
// GFX1250: v_dual_cndmask_b32 v0, v1, v2, s96 :: v_dual_add_f32 v5, -s6, -v7 ; encoding: [0x01,0x41,0x24,0xcf,0x06,0x30,0x02,0x60,0x00,0x07,0x00,0x05]
// W64-ERR: :[[@LINE-2]]:1: error: instruction requires wavesize=32
